;; amdgpu-corpus repo=ROCm/rocFFT kind=compiled arch=gfx1201 opt=O3
	.text
	.amdgcn_target "amdgcn-amd-amdhsa--gfx1201"
	.amdhsa_code_object_version 6
	.protected	fft_rtc_back_len1960_factors_4_7_2_7_5_wgs_56_tpt_56_halfLds_dp_ip_CI_unitstride_sbrr_R2C_dirReg ; -- Begin function fft_rtc_back_len1960_factors_4_7_2_7_5_wgs_56_tpt_56_halfLds_dp_ip_CI_unitstride_sbrr_R2C_dirReg
	.globl	fft_rtc_back_len1960_factors_4_7_2_7_5_wgs_56_tpt_56_halfLds_dp_ip_CI_unitstride_sbrr_R2C_dirReg
	.p2align	8
	.type	fft_rtc_back_len1960_factors_4_7_2_7_5_wgs_56_tpt_56_halfLds_dp_ip_CI_unitstride_sbrr_R2C_dirReg,@function
fft_rtc_back_len1960_factors_4_7_2_7_5_wgs_56_tpt_56_halfLds_dp_ip_CI_unitstride_sbrr_R2C_dirReg: ; @fft_rtc_back_len1960_factors_4_7_2_7_5_wgs_56_tpt_56_halfLds_dp_ip_CI_unitstride_sbrr_R2C_dirReg
; %bb.0:
	s_clause 0x2
	s_load_b128 s[4:7], s[0:1], 0x0
	s_load_b64 s[8:9], s[0:1], 0x50
	s_load_b64 s[10:11], s[0:1], 0x18
	v_mul_u32_u24_e32 v1, 0x493, v0
	v_mov_b32_e32 v3, 0
	s_delay_alu instid0(VALU_DEP_2) | instskip(NEXT) | instid1(VALU_DEP_1)
	v_lshrrev_b32_e32 v1, 16, v1
	v_add_nc_u32_e32 v5, ttmp9, v1
	v_mov_b32_e32 v1, 0
	v_mov_b32_e32 v2, 0
	;; [unrolled: 1-line block ×3, first 2 shown]
	s_wait_kmcnt 0x0
	v_cmp_lt_u64_e64 s2, s[6:7], 2
	s_delay_alu instid0(VALU_DEP_1)
	s_and_b32 vcc_lo, exec_lo, s2
	s_cbranch_vccnz .LBB0_8
; %bb.1:
	s_load_b64 s[2:3], s[0:1], 0x10
	v_mov_b32_e32 v1, 0
	v_mov_b32_e32 v2, 0
	s_add_nc_u64 s[12:13], s[10:11], 8
	s_mov_b64 s[14:15], 1
	s_wait_kmcnt 0x0
	s_add_nc_u64 s[16:17], s[2:3], 8
	s_mov_b32 s3, 0
.LBB0_2:                                ; =>This Inner Loop Header: Depth=1
	s_load_b64 s[18:19], s[16:17], 0x0
                                        ; implicit-def: $vgpr7_vgpr8
	s_mov_b32 s2, exec_lo
	s_wait_kmcnt 0x0
	v_or_b32_e32 v4, s19, v6
	s_delay_alu instid0(VALU_DEP_1)
	v_cmpx_ne_u64_e32 0, v[3:4]
	s_wait_alu 0xfffe
	s_xor_b32 s20, exec_lo, s2
	s_cbranch_execz .LBB0_4
; %bb.3:                                ;   in Loop: Header=BB0_2 Depth=1
	s_cvt_f32_u32 s2, s18
	s_cvt_f32_u32 s21, s19
	s_sub_nc_u64 s[24:25], 0, s[18:19]
	s_wait_alu 0xfffe
	s_delay_alu instid0(SALU_CYCLE_1) | instskip(SKIP_1) | instid1(SALU_CYCLE_2)
	s_fmamk_f32 s2, s21, 0x4f800000, s2
	s_wait_alu 0xfffe
	v_s_rcp_f32 s2, s2
	s_delay_alu instid0(TRANS32_DEP_1) | instskip(SKIP_1) | instid1(SALU_CYCLE_2)
	s_mul_f32 s2, s2, 0x5f7ffffc
	s_wait_alu 0xfffe
	s_mul_f32 s21, s2, 0x2f800000
	s_wait_alu 0xfffe
	s_delay_alu instid0(SALU_CYCLE_2) | instskip(SKIP_1) | instid1(SALU_CYCLE_2)
	s_trunc_f32 s21, s21
	s_wait_alu 0xfffe
	s_fmamk_f32 s2, s21, 0xcf800000, s2
	s_cvt_u32_f32 s23, s21
	s_wait_alu 0xfffe
	s_delay_alu instid0(SALU_CYCLE_1) | instskip(SKIP_1) | instid1(SALU_CYCLE_2)
	s_cvt_u32_f32 s22, s2
	s_wait_alu 0xfffe
	s_mul_u64 s[26:27], s[24:25], s[22:23]
	s_wait_alu 0xfffe
	s_mul_hi_u32 s29, s22, s27
	s_mul_i32 s28, s22, s27
	s_mul_hi_u32 s2, s22, s26
	s_mul_i32 s30, s23, s26
	s_wait_alu 0xfffe
	s_add_nc_u64 s[28:29], s[2:3], s[28:29]
	s_mul_hi_u32 s21, s23, s26
	s_mul_hi_u32 s31, s23, s27
	s_add_co_u32 s2, s28, s30
	s_wait_alu 0xfffe
	s_add_co_ci_u32 s2, s29, s21
	s_mul_i32 s26, s23, s27
	s_add_co_ci_u32 s27, s31, 0
	s_wait_alu 0xfffe
	s_add_nc_u64 s[26:27], s[2:3], s[26:27]
	s_wait_alu 0xfffe
	v_add_co_u32 v4, s2, s22, s26
	s_delay_alu instid0(VALU_DEP_1) | instskip(SKIP_1) | instid1(VALU_DEP_1)
	s_cmp_lg_u32 s2, 0
	s_add_co_ci_u32 s23, s23, s27
	v_readfirstlane_b32 s22, v4
	s_wait_alu 0xfffe
	s_delay_alu instid0(VALU_DEP_1)
	s_mul_u64 s[24:25], s[24:25], s[22:23]
	s_wait_alu 0xfffe
	s_mul_hi_u32 s27, s22, s25
	s_mul_i32 s26, s22, s25
	s_mul_hi_u32 s2, s22, s24
	s_mul_i32 s28, s23, s24
	s_wait_alu 0xfffe
	s_add_nc_u64 s[26:27], s[2:3], s[26:27]
	s_mul_hi_u32 s21, s23, s24
	s_mul_hi_u32 s22, s23, s25
	s_wait_alu 0xfffe
	s_add_co_u32 s2, s26, s28
	s_add_co_ci_u32 s2, s27, s21
	s_mul_i32 s24, s23, s25
	s_add_co_ci_u32 s25, s22, 0
	s_wait_alu 0xfffe
	s_add_nc_u64 s[24:25], s[2:3], s[24:25]
	s_wait_alu 0xfffe
	v_add_co_u32 v4, s2, v4, s24
	s_delay_alu instid0(VALU_DEP_1) | instskip(SKIP_1) | instid1(VALU_DEP_1)
	s_cmp_lg_u32 s2, 0
	s_add_co_ci_u32 s2, s23, s25
	v_mul_hi_u32 v13, v5, v4
	s_wait_alu 0xfffe
	v_mad_co_u64_u32 v[7:8], null, v5, s2, 0
	v_mad_co_u64_u32 v[9:10], null, v6, v4, 0
	;; [unrolled: 1-line block ×3, first 2 shown]
	s_delay_alu instid0(VALU_DEP_3) | instskip(SKIP_1) | instid1(VALU_DEP_4)
	v_add_co_u32 v4, vcc_lo, v13, v7
	s_wait_alu 0xfffd
	v_add_co_ci_u32_e32 v7, vcc_lo, 0, v8, vcc_lo
	s_delay_alu instid0(VALU_DEP_2) | instskip(SKIP_1) | instid1(VALU_DEP_2)
	v_add_co_u32 v4, vcc_lo, v4, v9
	s_wait_alu 0xfffd
	v_add_co_ci_u32_e32 v4, vcc_lo, v7, v10, vcc_lo
	s_wait_alu 0xfffd
	v_add_co_ci_u32_e32 v7, vcc_lo, 0, v12, vcc_lo
	s_delay_alu instid0(VALU_DEP_2) | instskip(SKIP_1) | instid1(VALU_DEP_2)
	v_add_co_u32 v4, vcc_lo, v4, v11
	s_wait_alu 0xfffd
	v_add_co_ci_u32_e32 v9, vcc_lo, 0, v7, vcc_lo
	s_delay_alu instid0(VALU_DEP_2) | instskip(SKIP_1) | instid1(VALU_DEP_3)
	v_mul_lo_u32 v10, s19, v4
	v_mad_co_u64_u32 v[7:8], null, s18, v4, 0
	v_mul_lo_u32 v11, s18, v9
	s_delay_alu instid0(VALU_DEP_2) | instskip(NEXT) | instid1(VALU_DEP_2)
	v_sub_co_u32 v7, vcc_lo, v5, v7
	v_add3_u32 v8, v8, v11, v10
	s_delay_alu instid0(VALU_DEP_1) | instskip(SKIP_1) | instid1(VALU_DEP_1)
	v_sub_nc_u32_e32 v10, v6, v8
	s_wait_alu 0xfffd
	v_subrev_co_ci_u32_e64 v10, s2, s19, v10, vcc_lo
	v_add_co_u32 v11, s2, v4, 2
	s_wait_alu 0xf1ff
	v_add_co_ci_u32_e64 v12, s2, 0, v9, s2
	v_sub_co_u32 v13, s2, v7, s18
	v_sub_co_ci_u32_e32 v8, vcc_lo, v6, v8, vcc_lo
	s_wait_alu 0xf1ff
	v_subrev_co_ci_u32_e64 v10, s2, 0, v10, s2
	s_delay_alu instid0(VALU_DEP_3) | instskip(NEXT) | instid1(VALU_DEP_3)
	v_cmp_le_u32_e32 vcc_lo, s18, v13
	v_cmp_eq_u32_e64 s2, s19, v8
	s_wait_alu 0xfffd
	v_cndmask_b32_e64 v13, 0, -1, vcc_lo
	v_cmp_le_u32_e32 vcc_lo, s19, v10
	s_wait_alu 0xfffd
	v_cndmask_b32_e64 v14, 0, -1, vcc_lo
	v_cmp_le_u32_e32 vcc_lo, s18, v7
	;; [unrolled: 3-line block ×3, first 2 shown]
	s_wait_alu 0xfffd
	v_cndmask_b32_e64 v15, 0, -1, vcc_lo
	v_cmp_eq_u32_e32 vcc_lo, s19, v10
	s_wait_alu 0xf1ff
	s_delay_alu instid0(VALU_DEP_2)
	v_cndmask_b32_e64 v7, v15, v7, s2
	s_wait_alu 0xfffd
	v_cndmask_b32_e32 v10, v14, v13, vcc_lo
	v_add_co_u32 v13, vcc_lo, v4, 1
	s_wait_alu 0xfffd
	v_add_co_ci_u32_e32 v14, vcc_lo, 0, v9, vcc_lo
	s_delay_alu instid0(VALU_DEP_3) | instskip(SKIP_2) | instid1(VALU_DEP_3)
	v_cmp_ne_u32_e32 vcc_lo, 0, v10
	s_wait_alu 0xfffd
	v_cndmask_b32_e32 v10, v13, v11, vcc_lo
	v_cndmask_b32_e32 v8, v14, v12, vcc_lo
	v_cmp_ne_u32_e32 vcc_lo, 0, v7
	s_wait_alu 0xfffd
	s_delay_alu instid0(VALU_DEP_2)
	v_dual_cndmask_b32 v7, v4, v10 :: v_dual_cndmask_b32 v8, v9, v8
.LBB0_4:                                ;   in Loop: Header=BB0_2 Depth=1
	s_wait_alu 0xfffe
	s_and_not1_saveexec_b32 s2, s20
	s_cbranch_execz .LBB0_6
; %bb.5:                                ;   in Loop: Header=BB0_2 Depth=1
	v_cvt_f32_u32_e32 v4, s18
	s_sub_co_i32 s20, 0, s18
	s_delay_alu instid0(VALU_DEP_1) | instskip(NEXT) | instid1(TRANS32_DEP_1)
	v_rcp_iflag_f32_e32 v4, v4
	v_mul_f32_e32 v4, 0x4f7ffffe, v4
	s_delay_alu instid0(VALU_DEP_1) | instskip(SKIP_1) | instid1(VALU_DEP_1)
	v_cvt_u32_f32_e32 v4, v4
	s_wait_alu 0xfffe
	v_mul_lo_u32 v7, s20, v4
	s_delay_alu instid0(VALU_DEP_1) | instskip(NEXT) | instid1(VALU_DEP_1)
	v_mul_hi_u32 v7, v4, v7
	v_add_nc_u32_e32 v4, v4, v7
	s_delay_alu instid0(VALU_DEP_1) | instskip(NEXT) | instid1(VALU_DEP_1)
	v_mul_hi_u32 v4, v5, v4
	v_mul_lo_u32 v7, v4, s18
	v_add_nc_u32_e32 v8, 1, v4
	s_delay_alu instid0(VALU_DEP_2) | instskip(NEXT) | instid1(VALU_DEP_1)
	v_sub_nc_u32_e32 v7, v5, v7
	v_subrev_nc_u32_e32 v9, s18, v7
	v_cmp_le_u32_e32 vcc_lo, s18, v7
	s_wait_alu 0xfffd
	s_delay_alu instid0(VALU_DEP_2) | instskip(NEXT) | instid1(VALU_DEP_1)
	v_dual_cndmask_b32 v7, v7, v9 :: v_dual_cndmask_b32 v4, v4, v8
	v_cmp_le_u32_e32 vcc_lo, s18, v7
	s_delay_alu instid0(VALU_DEP_2) | instskip(SKIP_1) | instid1(VALU_DEP_1)
	v_add_nc_u32_e32 v8, 1, v4
	s_wait_alu 0xfffd
	v_dual_cndmask_b32 v7, v4, v8 :: v_dual_mov_b32 v8, v3
.LBB0_6:                                ;   in Loop: Header=BB0_2 Depth=1
	s_wait_alu 0xfffe
	s_or_b32 exec_lo, exec_lo, s2
	s_load_b64 s[20:21], s[12:13], 0x0
	s_delay_alu instid0(VALU_DEP_1)
	v_mul_lo_u32 v4, v8, s18
	v_mul_lo_u32 v11, v7, s19
	v_mad_co_u64_u32 v[9:10], null, v7, s18, 0
	s_add_nc_u64 s[14:15], s[14:15], 1
	s_add_nc_u64 s[12:13], s[12:13], 8
	s_wait_alu 0xfffe
	v_cmp_ge_u64_e64 s2, s[14:15], s[6:7]
	s_add_nc_u64 s[16:17], s[16:17], 8
	s_delay_alu instid0(VALU_DEP_2) | instskip(NEXT) | instid1(VALU_DEP_3)
	v_add3_u32 v4, v10, v11, v4
	v_sub_co_u32 v5, vcc_lo, v5, v9
	s_wait_alu 0xfffd
	s_delay_alu instid0(VALU_DEP_2) | instskip(SKIP_3) | instid1(VALU_DEP_2)
	v_sub_co_ci_u32_e32 v4, vcc_lo, v6, v4, vcc_lo
	s_and_b32 vcc_lo, exec_lo, s2
	s_wait_kmcnt 0x0
	v_mul_lo_u32 v6, s21, v5
	v_mul_lo_u32 v4, s20, v4
	v_mad_co_u64_u32 v[1:2], null, s20, v5, v[1:2]
	s_delay_alu instid0(VALU_DEP_1)
	v_add3_u32 v2, v6, v2, v4
	s_wait_alu 0xfffe
	s_cbranch_vccnz .LBB0_9
; %bb.7:                                ;   in Loop: Header=BB0_2 Depth=1
	v_dual_mov_b32 v5, v7 :: v_dual_mov_b32 v6, v8
	s_branch .LBB0_2
.LBB0_8:
	v_dual_mov_b32 v8, v6 :: v_dual_mov_b32 v7, v5
.LBB0_9:
	s_lshl_b64 s[2:3], s[6:7], 3
	v_mul_hi_u32 v3, 0x4924925, v0
	s_wait_alu 0xfffe
	s_add_nc_u64 s[2:3], s[10:11], s[2:3]
	s_load_b64 s[0:1], s[0:1], 0x20
	s_load_b64 s[2:3], s[2:3], 0x0
	s_delay_alu instid0(VALU_DEP_1) | instskip(NEXT) | instid1(VALU_DEP_1)
	v_mul_u32_u24_e32 v3, 56, v3
	v_sub_nc_u32_e32 v144, v0, v3
	s_delay_alu instid0(VALU_DEP_1)
	v_add_nc_u32_e32 v149, 56, v144
	v_add_nc_u32_e32 v195, 0x70, v144
	;; [unrolled: 1-line block ×4, first 2 shown]
	s_wait_kmcnt 0x0
	v_cmp_gt_u64_e32 vcc_lo, s[0:1], v[7:8]
	v_mul_lo_u32 v3, s2, v8
	v_mad_co_u64_u32 v[0:1], null, s2, v7, v[1:2]
	v_add_nc_u32_e32 v2, 0x118, v144
	v_mul_lo_u32 v4, s3, v7
	v_cmp_le_u64_e64 s0, s[0:1], v[7:8]
	scratch_store_b64 off, v[2:3], off offset:16 ; 8-byte Folded Spill
	v_add_nc_u32_e32 v2, 0x150, v144
	v_add3_u32 v1, v4, v1, v3
	scratch_store_b64 off, v[2:3], off offset:8 ; 8-byte Folded Spill
	v_add_nc_u32_e32 v2, 0x188, v144
	scratch_store_b64 off, v[2:3], off      ; 8-byte Folded Spill
	v_or_b32_e32 v2, 0x1c0, v144
	scratch_store_b64 off, v[2:3], off offset:24 ; 8-byte Folded Spill
	s_and_saveexec_b32 s1, s0
	s_wait_alu 0xfffe
	s_xor_b32 s0, exec_lo, s1
	s_cbranch_execz .LBB0_11
; %bb.10:
	v_add_nc_u32_e32 v2, 0x118, v144
	v_add_nc_u32_e32 v149, 56, v144
	;; [unrolled: 1-line block ×5, first 2 shown]
	scratch_store_b64 off, v[2:3], off offset:16 ; 8-byte Folded Spill
	v_add_nc_u32_e32 v2, 0x150, v144
	scratch_store_b64 off, v[2:3], off offset:8 ; 8-byte Folded Spill
	v_add_nc_u32_e32 v2, 0x188, v144
	scratch_store_b64 off, v[2:3], off      ; 8-byte Folded Spill
	v_or_b32_e32 v2, 0x1c0, v144
	scratch_store_b64 off, v[2:3], off offset:24 ; 8-byte Folded Spill
.LBB0_11:
	s_wait_alu 0xfffe
	s_or_saveexec_b32 s1, s0
	v_lshlrev_b64_e32 v[0:1], 4, v[0:1]
	v_lshl_add_u32 v247, v144, 4, 0
	scratch_store_b64 off, v[0:1], off offset:44 ; 8-byte Folded Spill
	s_wait_alu 0xfffe
	s_xor_b32 exec_lo, exec_lo, s1
	s_cbranch_execz .LBB0_13
; %bb.12:
	scratch_load_b64 v[2:3], off, off offset:44 ; 8-byte Folded Reload
	v_mov_b32_e32 v145, 0
	s_delay_alu instid0(VALU_DEP_1) | instskip(SKIP_4) | instid1(VALU_DEP_2)
	v_lshlrev_b64_e32 v[0:1], 4, v[144:145]
	s_wait_loadcnt 0x0
	v_add_co_u32 v2, s0, s8, v2
	s_wait_alu 0xf1ff
	v_add_co_ci_u32_e64 v3, s0, s9, v3, s0
	v_add_co_u32 v136, s0, v2, v0
	s_wait_alu 0xf1ff
	s_delay_alu instid0(VALU_DEP_2)
	v_add_co_ci_u32_e64 v137, s0, v3, v1, s0
	s_clause 0x1f
	global_load_b128 v[0:3], v[136:137], off
	global_load_b128 v[4:7], v[136:137], off offset:896
	global_load_b128 v[8:11], v[136:137], off offset:1792
	;; [unrolled: 1-line block ×31, first 2 shown]
	s_clause 0x2
	global_load_b128 v[128:131], v[136:137], off offset:28672
	global_load_b128 v[132:135], v[136:137], off offset:29568
	;; [unrolled: 1-line block ×3, first 2 shown]
	s_wait_loadcnt 0x22
	ds_store_b128 v247, v[0:3]
	s_wait_loadcnt 0x21
	ds_store_b128 v247, v[4:7] offset:896
	s_wait_loadcnt 0x20
	ds_store_b128 v247, v[8:11] offset:1792
	;; [unrolled: 2-line block ×34, first 2 shown]
.LBB0_13:
	s_or_b32 exec_lo, exec_lo, s1
	global_wb scope:SCOPE_SE
	s_wait_storecnt_dscnt 0x0
	s_barrier_signal -1
	s_barrier_wait -1
	global_inv scope:SCOPE_SE
	ds_load_b128 v[24:27], v247 offset:15680
	ds_load_b128 v[12:15], v247
	ds_load_b128 v[0:3], v247 offset:7840
	ds_load_b128 v[28:31], v247 offset:23520
	;; [unrolled: 1-line block ×12, first 2 shown]
	s_mov_b32 s1, exec_lo
	s_wait_dscnt 0xc
	v_add_f64_e64 v[124:125], v[12:13], -v[24:25]
	v_add_f64_e64 v[126:127], v[14:15], -v[26:27]
	ds_load_b128 v[24:27], v247 offset:17472
	ds_load_b128 v[56:59], v247 offset:18368
	s_wait_dscnt 0xc
	v_add_f64_e64 v[128:129], v[0:1], -v[28:29]
	v_add_f64_e64 v[130:131], v[2:3], -v[30:31]
	ds_load_b128 v[28:31], v247 offset:10528
	ds_load_b128 v[60:63], v247 offset:11424
	;; [unrolled: 1-line block ×17, first 2 shown]
	s_wait_dscnt 0x1b
	v_add_f64_e64 v[132:133], v[8:9], -v[16:17]
	v_add_f64_e64 v[134:135], v[10:11], -v[18:19]
	ds_load_b128 v[16:19], v247 offset:14112
	s_wait_dscnt 0x17
	v_add_f64_e64 v[40:41], v[32:33], -v[40:41]
	s_wait_dscnt 0x16
	v_add_f64_e64 v[140:141], v[36:37], -v[44:45]
	v_add_f64_e64 v[44:45], v[38:39], -v[46:47]
	;; [unrolled: 1-line block ×3, first 2 shown]
	s_wait_dscnt 0xb
	v_add_f64_e64 v[159:160], v[72:73], -v[80:81]
	v_add_f64_e64 v[161:162], v[74:75], -v[82:83]
	s_wait_dscnt 0xa
	v_add_f64_e64 v[163:164], v[76:77], -v[84:85]
	v_add_f64_e64 v[165:166], v[78:79], -v[86:87]
	;; [unrolled: 3-line block ×3, first 2 shown]
	v_add_f64_e64 v[138:139], v[50:51], -v[26:27]
	v_add_f64_e64 v[142:143], v[52:53], -v[56:57]
	v_add_f64_e64 v[157:158], v[54:55], -v[58:59]
	v_add_f64_e64 v[56:57], v[28:29], -v[64:65]
	v_add_f64_e64 v[58:59], v[30:31], -v[66:67]
	s_wait_dscnt 0x3
	v_add_f64_e64 v[167:168], v[104:105], -v[112:113]
	v_add_f64_e64 v[169:170], v[106:107], -v[114:115]
	s_wait_dscnt 0x2
	v_add_f64_e64 v[171:172], v[108:109], -v[116:117]
	v_add_f64_e64 v[173:174], v[110:111], -v[118:119]
	;; [unrolled: 1-line block ×7, first 2 shown]
	s_wait_dscnt 0x0
	v_add_f64_e64 v[96:97], v[16:17], -v[120:121]
	v_add_f64_e64 v[98:99], v[18:19], -v[122:123]
	v_fma_f64 v[80:81], v[12:13], 2.0, -v[124:125]
	v_fma_f64 v[82:83], v[14:15], 2.0, -v[126:127]
	;; [unrolled: 1-line block ×4, first 2 shown]
	ds_load_b128 v[12:15], v247 offset:15008
	ds_load_b128 v[0:3], v247 offset:30688
	v_fma_f64 v[100:101], v[8:9], 2.0, -v[132:133]
	v_fma_f64 v[102:103], v[10:11], 2.0, -v[134:135]
	global_wb scope:SCOPE_SE
	s_wait_dscnt 0x0
	v_fma_f64 v[8:9], v[32:33], 2.0, -v[40:41]
	v_fma_f64 v[46:47], v[36:37], 2.0, -v[140:141]
	s_barrier_signal -1
	v_fma_f64 v[10:11], v[34:35], 2.0, -v[42:43]
	v_add_f64_e32 v[36:37], v[132:133], v[42:43]
	s_barrier_wait -1
	v_fma_f64 v[120:121], v[72:73], 2.0, -v[159:160]
	v_fma_f64 v[122:123], v[74:75], 2.0, -v[161:162]
	v_fma_f64 v[175:176], v[76:77], 2.0, -v[163:164]
	v_fma_f64 v[177:178], v[78:79], 2.0, -v[165:166]
	global_inv scope:SCOPE_SE
	v_fma_f64 v[76:77], v[92:93], 2.0, -v[84:85]
	v_fma_f64 v[112:113], v[48:49], 2.0, -v[136:137]
	;; [unrolled: 1-line block ×8, first 2 shown]
	v_add_f64_e32 v[28:29], v[124:125], v[130:131]
	v_add_f64_e64 v[30:31], v[126:127], -v[128:129]
	v_add_f64_e64 v[38:39], v[134:135], -v[40:41]
	;; [unrolled: 1-line block ×3, first 2 shown]
	v_add_f64_e32 v[44:45], v[136:137], v[44:45]
	v_fma_f64 v[183:184], v[108:109], 2.0, -v[171:172]
	v_fma_f64 v[185:186], v[110:111], 2.0, -v[173:174]
	;; [unrolled: 1-line block ×8, first 2 shown]
	v_add_f64_e64 v[24:25], v[80:81], -v[24:25]
	v_add_f64_e64 v[26:27], v[82:83], -v[26:27]
	v_fma_f64 v[18:19], v[18:19], 2.0, -v[98:99]
	v_add_f64_e32 v[88:89], v[171:172], v[98:99]
	v_add_f64_e64 v[90:91], v[173:174], -v[96:97]
	v_fma_f64 v[60:61], v[60:61], 2.0, -v[64:65]
	v_add_f64_e64 v[32:33], v[100:101], -v[8:9]
	v_add_f64_e64 v[8:9], v[4:5], -v[20:21]
	v_fma_f64 v[62:63], v[62:63], 2.0, -v[66:67]
	v_add_f64_e64 v[34:35], v[102:103], -v[10:11]
	v_add_f64_e64 v[10:11], v[6:7], -v[22:23]
	v_fma_f64 v[96:97], v[132:133], 2.0, -v[36:37]
	v_add_f64_e32 v[56:57], v[159:160], v[66:67]
	v_add_f64_e64 v[66:67], v[165:166], -v[68:69]
	v_add_f64_e64 v[40:41], v[112:113], -v[46:47]
	;; [unrolled: 1-line block ×4, first 2 shown]
	v_lshl_add_u32 v140, v144, 6, 0
	v_lshl_add_u32 v141, v149, 6, 0
	v_add_f64_e64 v[48:49], v[116:117], -v[50:51]
	v_add_f64_e64 v[50:51], v[118:119], -v[52:53]
	v_add_f64_e32 v[52:53], v[142:143], v[58:59]
	v_fma_f64 v[20:21], v[124:125], 2.0, -v[28:29]
	v_fma_f64 v[22:23], v[126:127], 2.0, -v[30:31]
	;; [unrolled: 1-line block ×4, first 2 shown]
	v_add_f64_e64 v[58:59], v[161:162], -v[64:65]
	v_add_f64_e32 v[64:65], v[163:164], v[70:71]
	ds_store_b128 v140, v[24:27] offset:32
	ds_store_b128 v140, v[28:31] offset:48
	v_fma_f64 v[80:81], v[80:81], 2.0, -v[24:25]
	v_fma_f64 v[82:83], v[82:83], 2.0, -v[26:27]
	v_add_f64_e64 v[68:69], v[175:176], -v[72:73]
	v_add_f64_e64 v[60:61], v[120:121], -v[60:61]
	v_fma_f64 v[92:93], v[100:101], 2.0, -v[32:33]
	v_add_f64_e64 v[70:71], v[177:178], -v[74:75]
	v_add_f64_e64 v[62:63], v[122:123], -v[62:63]
	v_fma_f64 v[94:95], v[102:103], 2.0, -v[34:35]
	v_add_f64_e32 v[72:73], v[167:168], v[86:87]
	v_add_f64_e64 v[74:75], v[169:170], -v[84:85]
	v_add_f64_e64 v[76:77], v[179:180], -v[76:77]
	v_fma_f64 v[130:131], v[165:166], 2.0, -v[66:67]
	v_add_f64_e64 v[78:79], v[181:182], -v[78:79]
	v_add_f64_e64 v[84:85], v[183:184], -v[16:17]
	;; [unrolled: 1-line block ×4, first 2 shown]
	v_fma_f64 v[100:101], v[112:113], 2.0, -v[40:41]
	v_fma_f64 v[106:107], v[138:139], 2.0, -v[46:47]
	;; [unrolled: 1-line block ×4, first 2 shown]
	v_add_f64_e64 v[16:17], v[12:13], -v[0:1]
	v_fma_f64 v[108:109], v[116:117], 2.0, -v[48:49]
	v_fma_f64 v[110:111], v[118:119], 2.0, -v[50:51]
	v_fma_f64 v[112:113], v[142:143], 2.0, -v[52:53]
	v_fma_f64 v[28:29], v[171:172], 2.0, -v[88:89]
	v_fma_f64 v[30:31], v[173:174], 2.0, -v[90:91]
	ds_store_b128 v140, v[80:83]
	ds_store_b128 v140, v[20:23] offset:16
	v_lshl_add_u32 v20, v195, 6, 0
	v_lshl_add_u32 v21, v194, 6, 0
	ds_store_b128 v141, v[32:35] offset:32
	ds_store_b128 v141, v[36:39] offset:48
	ds_store_b128 v141, v[92:95]
	ds_store_b128 v141, v[96:99] offset:16
	v_fma_f64 v[116:117], v[120:121], 2.0, -v[60:61]
	v_fma_f64 v[118:119], v[122:123], 2.0, -v[62:63]
	ds_store_b128 v20, v[40:43] offset:32
	ds_store_b128 v20, v[44:47] offset:48
	ds_store_b128 v20, v[100:103]
	ds_store_b128 v20, v[104:107] offset:16
	ds_store_b128 v21, v[108:111]
	ds_store_b128 v21, v[112:115] offset:16
	ds_store_b128 v21, v[48:51] offset:32
	;; [unrolled: 1-line block ×3, first 2 shown]
	scratch_load_b64 v[21:22], off, off offset:16 ; 8-byte Folded Reload
	v_fma_f64 v[120:121], v[159:160], 2.0, -v[56:57]
	v_fma_f64 v[122:123], v[161:162], 2.0, -v[58:59]
	;; [unrolled: 1-line block ×5, first 2 shown]
	v_lshl_add_u32 v20, v193, 6, 0
	ds_store_b128 v20, v[116:119]
	ds_store_b128 v20, v[120:123] offset:16
	ds_store_b128 v20, v[60:63] offset:32
	;; [unrolled: 1-line block ×3, first 2 shown]
	v_fma_f64 v[132:133], v[179:180], 2.0, -v[76:77]
	v_fma_f64 v[134:135], v[181:182], 2.0, -v[78:79]
	v_add_f64_e32 v[0:1], v[8:9], v[18:19]
	v_add_f64_e64 v[2:3], v[10:11], -v[16:17]
	v_fma_f64 v[136:137], v[167:168], 2.0, -v[72:73]
	v_fma_f64 v[138:139], v[169:170], 2.0, -v[74:75]
	;; [unrolled: 1-line block ×4, first 2 shown]
	s_wait_loadcnt 0x0
	v_lshl_add_u32 v145, v21, 6, 0
	scratch_load_b64 v[20:21], off, off offset:8 ; 8-byte Folded Reload
	ds_store_b128 v145, v[124:127]
	ds_store_b128 v145, v[128:131] offset:16
	ds_store_b128 v145, v[68:71] offset:32
	;; [unrolled: 1-line block ×3, first 2 shown]
	scratch_load_b64 v[21:22], off, off     ; 8-byte Folded Reload
	s_wait_loadcnt 0x1
	v_lshl_add_u32 v20, v20, 6, 0
	s_wait_loadcnt 0x0
	v_lshl_add_u32 v21, v21, 6, 0
	ds_store_b128 v20, v[132:135]
	ds_store_b128 v20, v[136:139] offset:16
	ds_store_b128 v20, v[76:79] offset:32
	;; [unrolled: 1-line block ×3, first 2 shown]
	ds_store_b128 v21, v[24:27]
	ds_store_b128 v21, v[28:31] offset:16
	ds_store_b128 v21, v[84:87] offset:32
	;; [unrolled: 1-line block ×3, first 2 shown]
	v_cmpx_gt_u32_e32 42, v144
	s_cbranch_execz .LBB0_15
; %bb.14:
	v_fma_f64 v[20:21], v[6:7], 2.0, -v[10:11]
	v_fma_f64 v[6:7], v[14:15], 2.0, -v[18:19]
	;; [unrolled: 1-line block ×4, first 2 shown]
	scratch_load_b64 v[16:17], off, off offset:24 ; 8-byte Folded Reload
	v_fma_f64 v[10:11], v[10:11], 2.0, -v[2:3]
	v_fma_f64 v[8:9], v[8:9], 2.0, -v[0:1]
	v_add_f64_e64 v[6:7], v[20:21], -v[6:7]
	v_add_f64_e64 v[4:5], v[18:19], -v[4:5]
	s_delay_alu instid0(VALU_DEP_2) | instskip(NEXT) | instid1(VALU_DEP_2)
	v_fma_f64 v[14:15], v[20:21], 2.0, -v[6:7]
	v_fma_f64 v[12:13], v[18:19], 2.0, -v[4:5]
	s_wait_loadcnt 0x0
	v_lshl_add_u32 v16, v16, 6, 0
	ds_store_b128 v16, v[12:15]
	ds_store_b128 v16, v[8:11] offset:16
	ds_store_b128 v16, v[4:7] offset:32
	;; [unrolled: 1-line block ×3, first 2 shown]
.LBB0_15:
	s_wait_alu 0xfffe
	s_or_b32 exec_lo, exec_lo, s1
	v_and_b32_e32 v150, 3, v144
	global_wb scope:SCOPE_SE
	s_wait_dscnt 0x0
	s_barrier_signal -1
	s_barrier_wait -1
	global_inv scope:SCOPE_SE
	v_mul_u32_u24_e32 v4, 6, v150
	s_mov_b32 s6, 0x429ad128
	s_mov_b32 s18, 0x37e14327
	;; [unrolled: 1-line block ×4, first 2 shown]
	v_lshlrev_b32_e32 v4, 4, v4
	s_mov_b32 s0, 0x36b3c0b5
	s_mov_b32 s10, 0xaaaaaaaa
	;; [unrolled: 1-line block ×4, first 2 shown]
	global_load_b128 v[12:15], v4, s[4:5]
	scratch_load_b64 v[5:6], off, off offset:16 ; 8-byte Folded Reload
	ds_load_b128 v[20:23], v247 offset:5376
	global_load_b128 v[16:19], v4, s[4:5] offset:16
	s_mov_b32 s1, 0x3fac98ee
	s_mov_b32 s11, 0xbff2aaaa
	;; [unrolled: 1-line block ×12, first 2 shown]
	v_lshl_add_u32 v250, v149, 4, 0
	v_lshl_add_u32 v249, v195, 4, 0
	;; [unrolled: 1-line block ×4, first 2 shown]
	ds_load_b128 v[158:161], v247
	s_wait_loadcnt 0x1
	v_mad_i32_i24 v157, 0xffffffd0, v5, v145
	ds_load_b128 v[5:8], v157
	s_wait_dscnt 0x0
	v_mul_f64_e32 v[9:10], v[7:8], v[14:15]
	v_mul_f64_e32 v[24:25], v[5:6], v[14:15]
	s_delay_alu instid0(VALU_DEP_2) | instskip(SKIP_1) | instid1(VALU_DEP_3)
	v_fma_f64 v[10:11], v[5:6], v[12:13], v[9:10]
	v_mul_f64_e32 v[5:6], v[22:23], v[14:15]
	v_fma_f64 v[8:9], v[7:8], v[12:13], -v[24:25]
	s_delay_alu instid0(VALU_DEP_2) | instskip(SKIP_1) | instid1(VALU_DEP_1)
	v_fma_f64 v[98:99], v[20:21], v[12:13], v[5:6]
	v_mul_f64_e32 v[5:6], v[20:21], v[14:15]
	v_fma_f64 v[96:97], v[22:23], v[12:13], -v[5:6]
	ds_load_b128 v[20:23], v247 offset:6272
	ds_load_b128 v[24:27], v247 offset:7168
	s_wait_dscnt 0x1
	v_mul_f64_e32 v[5:6], v[22:23], v[14:15]
	s_delay_alu instid0(VALU_DEP_1) | instskip(SKIP_1) | instid1(VALU_DEP_1)
	v_fma_f64 v[74:75], v[20:21], v[12:13], v[5:6]
	v_mul_f64_e32 v[5:6], v[20:21], v[14:15]
	v_fma_f64 v[72:73], v[22:23], v[12:13], -v[5:6]
	s_wait_dscnt 0x0
	v_mul_f64_e32 v[5:6], v[26:27], v[14:15]
	s_delay_alu instid0(VALU_DEP_1) | instskip(SKIP_1) | instid1(VALU_DEP_1)
	v_fma_f64 v[50:51], v[24:25], v[12:13], v[5:6]
	v_mul_f64_e32 v[5:6], v[24:25], v[14:15]
	v_fma_f64 v[48:49], v[26:27], v[12:13], -v[5:6]
	ds_load_b128 v[20:23], v247 offset:8064
	ds_load_b128 v[24:27], v247 offset:8960
	s_wait_dscnt 0x1
	v_mul_f64_e32 v[5:6], v[22:23], v[14:15]
	s_delay_alu instid0(VALU_DEP_1) | instskip(SKIP_1) | instid1(VALU_DEP_1)
	v_fma_f64 v[34:35], v[20:21], v[12:13], v[5:6]
	v_mul_f64_e32 v[5:6], v[20:21], v[14:15]
	v_fma_f64 v[32:33], v[22:23], v[12:13], -v[5:6]
	s_wait_loadcnt_dscnt 0x0
	v_mul_f64_e32 v[5:6], v[26:27], v[18:19]
	s_delay_alu instid0(VALU_DEP_1) | instskip(SKIP_1) | instid1(VALU_DEP_1)
	v_fma_f64 v[14:15], v[24:25], v[16:17], v[5:6]
	v_mul_f64_e32 v[5:6], v[24:25], v[18:19]
	v_fma_f64 v[12:13], v[26:27], v[16:17], -v[5:6]
	ds_load_b128 v[20:23], v247 offset:9856
	ds_load_b128 v[24:27], v247 offset:10752
	s_wait_dscnt 0x1
	v_mul_f64_e32 v[5:6], v[22:23], v[18:19]
	s_delay_alu instid0(VALU_DEP_1) | instskip(SKIP_1) | instid1(VALU_DEP_1)
	v_fma_f64 v[106:107], v[20:21], v[16:17], v[5:6]
	v_mul_f64_e32 v[5:6], v[20:21], v[18:19]
	v_fma_f64 v[104:105], v[22:23], v[16:17], -v[5:6]
	s_wait_dscnt 0x0
	v_mul_f64_e32 v[5:6], v[26:27], v[18:19]
	s_delay_alu instid0(VALU_DEP_1) | instskip(SKIP_1) | instid1(VALU_DEP_1)
	v_fma_f64 v[82:83], v[24:25], v[16:17], v[5:6]
	v_mul_f64_e32 v[5:6], v[24:25], v[18:19]
	v_fma_f64 v[80:81], v[26:27], v[16:17], -v[5:6]
	ds_load_b128 v[20:23], v247 offset:11648
	ds_load_b128 v[24:27], v247 offset:12544
	s_wait_dscnt 0x1
	v_mul_f64_e32 v[5:6], v[22:23], v[18:19]
	s_delay_alu instid0(VALU_DEP_1) | instskip(SKIP_1) | instid1(VALU_DEP_1)
	v_fma_f64 v[58:59], v[20:21], v[16:17], v[5:6]
	v_mul_f64_e32 v[5:6], v[20:21], v[18:19]
	v_fma_f64 v[56:57], v[22:23], v[16:17], -v[5:6]
	global_load_b128 v[20:23], v4, s[4:5] offset:32
	s_wait_dscnt 0x0
	v_mul_f64_e32 v[5:6], v[26:27], v[18:19]
	s_delay_alu instid0(VALU_DEP_1) | instskip(SKIP_1) | instid1(VALU_DEP_1)
	v_fma_f64 v[38:39], v[24:25], v[16:17], v[5:6]
	v_mul_f64_e32 v[5:6], v[24:25], v[18:19]
	v_fma_f64 v[36:37], v[26:27], v[16:17], -v[5:6]
	ds_load_b128 v[24:27], v247 offset:13440
	ds_load_b128 v[28:31], v247 offset:14336
	global_load_b128 v[52:55], v4, s[4:5] offset:48
	s_wait_loadcnt_dscnt 0x101
	v_mul_f64_e32 v[5:6], v[26:27], v[22:23]
	s_delay_alu instid0(VALU_DEP_1) | instskip(SKIP_1) | instid1(VALU_DEP_1)
	v_fma_f64 v[18:19], v[24:25], v[20:21], v[5:6]
	v_mul_f64_e32 v[5:6], v[24:25], v[22:23]
	v_fma_f64 v[16:17], v[26:27], v[20:21], -v[5:6]
	s_wait_dscnt 0x0
	v_mul_f64_e32 v[5:6], v[30:31], v[22:23]
	s_delay_alu instid0(VALU_DEP_1) | instskip(SKIP_1) | instid1(VALU_DEP_1)
	v_fma_f64 v[114:115], v[28:29], v[20:21], v[5:6]
	v_mul_f64_e32 v[5:6], v[28:29], v[22:23]
	v_fma_f64 v[112:113], v[30:31], v[20:21], -v[5:6]
	ds_load_b128 v[24:27], v247 offset:15232
	ds_load_b128 v[28:31], v247 offset:16128
	s_wait_dscnt 0x1
	v_mul_f64_e32 v[5:6], v[26:27], v[22:23]
	s_delay_alu instid0(VALU_DEP_1) | instskip(SKIP_1) | instid1(VALU_DEP_1)
	v_fma_f64 v[90:91], v[24:25], v[20:21], v[5:6]
	v_mul_f64_e32 v[5:6], v[24:25], v[22:23]
	v_fma_f64 v[88:89], v[26:27], v[20:21], -v[5:6]
	s_wait_dscnt 0x0
	v_mul_f64_e32 v[5:6], v[30:31], v[22:23]
	s_delay_alu instid0(VALU_DEP_1) | instskip(SKIP_1) | instid1(VALU_DEP_1)
	v_fma_f64 v[66:67], v[28:29], v[20:21], v[5:6]
	v_mul_f64_e32 v[5:6], v[28:29], v[22:23]
	v_fma_f64 v[64:65], v[30:31], v[20:21], -v[5:6]
	ds_load_b128 v[24:27], v247 offset:17024
	ds_load_b128 v[28:31], v247 offset:17920
	s_wait_dscnt 0x1
	v_mul_f64_e32 v[5:6], v[26:27], v[22:23]
	s_delay_alu instid0(VALU_DEP_1) | instskip(SKIP_1) | instid1(VALU_DEP_1)
	v_fma_f64 v[42:43], v[24:25], v[20:21], v[5:6]
	v_mul_f64_e32 v[5:6], v[24:25], v[22:23]
	v_fma_f64 v[40:41], v[26:27], v[20:21], -v[5:6]
	s_wait_loadcnt_dscnt 0x0
	v_mul_f64_e32 v[5:6], v[30:31], v[54:55]
	s_delay_alu instid0(VALU_DEP_1) | instskip(SKIP_1) | instid1(VALU_DEP_1)
	v_fma_f64 v[22:23], v[28:29], v[52:53], v[5:6]
	v_mul_f64_e32 v[5:6], v[28:29], v[54:55]
	v_fma_f64 v[20:21], v[30:31], v[52:53], -v[5:6]
	ds_load_b128 v[24:27], v247 offset:18816
	ds_load_b128 v[28:31], v247 offset:19712
	s_wait_dscnt 0x1
	v_mul_f64_e32 v[5:6], v[26:27], v[54:55]
	s_delay_alu instid0(VALU_DEP_1) | instskip(SKIP_1) | instid1(VALU_DEP_1)
	v_fma_f64 v[118:119], v[24:25], v[52:53], v[5:6]
	v_mul_f64_e32 v[5:6], v[24:25], v[54:55]
	v_fma_f64 v[116:117], v[26:27], v[52:53], -v[5:6]
	s_wait_dscnt 0x0
	v_mul_f64_e32 v[5:6], v[30:31], v[54:55]
	s_delay_alu instid0(VALU_DEP_1) | instskip(SKIP_1) | instid1(VALU_DEP_1)
	v_fma_f64 v[94:95], v[28:29], v[52:53], v[5:6]
	v_mul_f64_e32 v[5:6], v[28:29], v[54:55]
	v_fma_f64 v[92:93], v[30:31], v[52:53], -v[5:6]
	ds_load_b128 v[24:27], v247 offset:20608
	ds_load_b128 v[28:31], v247 offset:21504
	s_wait_dscnt 0x1
	v_mul_f64_e32 v[5:6], v[26:27], v[54:55]
	s_delay_alu instid0(VALU_DEP_1) | instskip(SKIP_1) | instid1(VALU_DEP_1)
	v_fma_f64 v[70:71], v[24:25], v[52:53], v[5:6]
	v_mul_f64_e32 v[5:6], v[24:25], v[54:55]
	v_fma_f64 v[68:69], v[26:27], v[52:53], -v[5:6]
	s_wait_dscnt 0x0
	v_mul_f64_e32 v[5:6], v[30:31], v[54:55]
	s_delay_alu instid0(VALU_DEP_1) | instskip(SKIP_1) | instid1(VALU_DEP_1)
	v_fma_f64 v[46:47], v[28:29], v[52:53], v[5:6]
	v_mul_f64_e32 v[5:6], v[28:29], v[54:55]
	v_fma_f64 v[44:45], v[30:31], v[52:53], -v[5:6]
	s_clause 0x1
	global_load_b128 v[28:31], v4, s[4:5] offset:64
	global_load_b128 v[4:7], v4, s[4:5] offset:80
	ds_load_b128 v[52:55], v247 offset:22400
	ds_load_b128 v[60:63], v247 offset:23296
	s_wait_loadcnt_dscnt 0x101
	v_mul_f64_e32 v[24:25], v[54:55], v[30:31]
	s_delay_alu instid0(VALU_DEP_1) | instskip(SKIP_3) | instid1(VALU_DEP_3)
	v_fma_f64 v[26:27], v[52:53], v[28:29], v[24:25]
	v_mul_f64_e32 v[24:25], v[52:53], v[30:31]
	s_wait_dscnt 0x0
	v_mul_f64_e32 v[52:53], v[62:63], v[30:31]
	v_add_f64_e32 v[140:141], v[14:15], v[26:27]
	s_delay_alu instid0(VALU_DEP_3) | instskip(NEXT) | instid1(VALU_DEP_3)
	v_fma_f64 v[24:25], v[54:55], v[28:29], -v[24:25]
	v_fma_f64 v[122:123], v[60:61], v[28:29], v[52:53]
	v_mul_f64_e32 v[52:53], v[60:61], v[30:31]
	v_add_f64_e64 v[14:15], v[14:15], -v[26:27]
	s_delay_alu instid0(VALU_DEP_4) | instskip(NEXT) | instid1(VALU_DEP_3)
	v_add_f64_e32 v[142:143], v[12:13], v[24:25]
	v_fma_f64 v[120:121], v[62:63], v[28:29], -v[52:53]
	ds_load_b128 v[52:55], v247 offset:24192
	ds_load_b128 v[60:63], v247 offset:25088
	s_wait_dscnt 0x1
	v_mul_f64_e32 v[76:77], v[54:55], v[30:31]
	s_delay_alu instid0(VALU_DEP_1) | instskip(SKIP_1) | instid1(VALU_DEP_1)
	v_fma_f64 v[102:103], v[52:53], v[28:29], v[76:77]
	v_mul_f64_e32 v[52:53], v[52:53], v[30:31]
	v_fma_f64 v[100:101], v[54:55], v[28:29], -v[52:53]
	s_wait_dscnt 0x0
	v_mul_f64_e32 v[52:53], v[62:63], v[30:31]
	s_delay_alu instid0(VALU_DEP_1) | instskip(SKIP_1) | instid1(VALU_DEP_1)
	v_fma_f64 v[78:79], v[60:61], v[28:29], v[52:53]
	v_mul_f64_e32 v[52:53], v[60:61], v[30:31]
	v_fma_f64 v[76:77], v[62:63], v[28:29], -v[52:53]
	ds_load_b128 v[60:63], v247 offset:25984
	ds_load_b128 v[84:87], v247 offset:26880
	s_wait_dscnt 0x1
	v_mul_f64_e32 v[52:53], v[62:63], v[30:31]
	v_mul_f64_e32 v[30:31], v[60:61], v[30:31]
	s_delay_alu instid0(VALU_DEP_2) | instskip(NEXT) | instid1(VALU_DEP_2)
	v_fma_f64 v[54:55], v[60:61], v[28:29], v[52:53]
	v_fma_f64 v[52:53], v[62:63], v[28:29], -v[30:31]
	s_wait_loadcnt_dscnt 0x0
	v_mul_f64_e32 v[28:29], v[86:87], v[6:7]
	s_delay_alu instid0(VALU_DEP_1) | instskip(SKIP_1) | instid1(VALU_DEP_1)
	v_fma_f64 v[136:137], v[84:85], v[4:5], v[28:29]
	v_mul_f64_e32 v[28:29], v[84:85], v[6:7]
	v_fma_f64 v[132:133], v[86:87], v[4:5], -v[28:29]
	ds_load_b128 v[28:31], v247 offset:27776
	ds_load_b128 v[60:63], v247 offset:28672
	s_wait_dscnt 0x1
	v_mul_f64_e32 v[84:85], v[30:31], v[6:7]
	s_delay_alu instid0(VALU_DEP_1) | instskip(SKIP_1) | instid1(VALU_DEP_1)
	v_fma_f64 v[126:127], v[28:29], v[4:5], v[84:85]
	v_mul_f64_e32 v[28:29], v[28:29], v[6:7]
	v_fma_f64 v[124:125], v[30:31], v[4:5], -v[28:29]
	s_wait_dscnt 0x0
	v_mul_f64_e32 v[28:29], v[62:63], v[6:7]
	s_delay_alu instid0(VALU_DEP_1) | instskip(SKIP_1) | instid1(VALU_DEP_1)
	v_fma_f64 v[110:111], v[60:61], v[4:5], v[28:29]
	v_mul_f64_e32 v[28:29], v[60:61], v[6:7]
	v_fma_f64 v[108:109], v[62:63], v[4:5], -v[28:29]
	ds_load_b128 v[28:31], v247 offset:29568
	ds_load_b128 v[128:131], v247 offset:30464
	s_wait_dscnt 0x1
	v_mul_f64_e32 v[60:61], v[30:31], v[6:7]
	s_delay_alu instid0(VALU_DEP_1) | instskip(SKIP_1) | instid1(VALU_DEP_1)
	v_fma_f64 v[86:87], v[28:29], v[4:5], v[60:61]
	v_mul_f64_e32 v[28:29], v[28:29], v[6:7]
	v_fma_f64 v[84:85], v[30:31], v[4:5], -v[28:29]
	s_wait_dscnt 0x0
	v_mul_f64_e32 v[28:29], v[130:131], v[6:7]
	v_mul_f64_e32 v[6:7], v[128:129], v[6:7]
	v_add_f64_e32 v[30:31], v[18:19], v[22:23]
	v_add_f64_e64 v[18:19], v[22:23], -v[18:19]
	v_add_f64_e64 v[22:23], v[10:11], -v[136:137]
	v_fma_f64 v[62:63], v[128:129], v[4:5], v[28:29]
	v_add_f64_e32 v[28:29], v[10:11], v[136:137]
	v_fma_f64 v[60:61], v[130:131], v[4:5], -v[6:7]
	v_add_f64_e32 v[128:129], v[8:9], v[132:133]
	v_add_f64_e32 v[130:131], v[16:17], v[20:21]
	v_add_f64_e64 v[10:11], v[12:13], -v[24:25]
	v_add_f64_e64 v[16:17], v[20:21], -v[16:17]
	;; [unrolled: 1-line block ×4, first 2 shown]
	v_add_f64_e32 v[8:9], v[18:19], v[14:15]
	v_add_f64_e64 v[12:13], v[18:19], -v[14:15]
	v_add_f64_e32 v[4:5], v[140:141], v[28:29]
	v_add_f64_e64 v[24:25], v[140:141], -v[28:29]
	v_add_f64_e64 v[140:141], v[14:15], -v[22:23]
	;; [unrolled: 1-line block ×5, first 2 shown]
	v_add_f64_e32 v[14:15], v[16:17], v[10:11]
	s_wait_alu 0xfffe
	v_mul_f64_e32 v[164:165], s[14:15], v[12:13]
	v_add_f64_e32 v[134:135], v[30:31], v[4:5]
	v_add_f64_e32 v[4:5], v[142:143], v[128:129]
	v_add_f64_e64 v[30:31], v[128:129], -v[130:131]
	v_add_f64_e64 v[142:143], v[16:17], -v[10:11]
	;; [unrolled: 1-line block ×3, first 2 shown]
	v_mul_f64_e32 v[28:29], s[18:19], v[28:29]
	v_add_f64_e32 v[162:163], v[14:15], v[20:21]
	v_fma_f64 v[12:13], v[140:141], s[6:7], -v[164:165]
	v_add_f64_e32 v[138:139], v[130:131], v[4:5]
	v_add_f64_e32 v[4:5], v[158:159], v[134:135]
	v_add_f64_e64 v[158:159], v[10:11], -v[20:21]
	v_add_f64_e64 v[130:131], v[20:21], -v[16:17]
	v_mul_f64_e32 v[16:17], s[6:7], v[140:141]
	v_mul_f64_e32 v[30:31], s[18:19], v[30:31]
	;; [unrolled: 1-line block ×3, first 2 shown]
	v_fma_f64 v[20:21], v[24:25], s[20:21], -v[28:29]
	v_mul_f64_e32 v[142:143], s[14:15], v[142:143]
	v_add_f64_e32 v[6:7], v[160:161], v[138:139]
	v_add_f64_e32 v[160:161], v[8:9], v[22:23]
	v_mul_f64_e32 v[18:19], s[6:7], v[158:159]
	v_mul_f64_e32 v[8:9], s[0:1], v[26:27]
	v_fma_f64 v[134:135], v[134:135], s[10:11], v[4:5]
	v_fma_f64 v[16:17], v[128:129], s[22:23], -v[16:17]
	v_fma_f64 v[22:23], v[132:133], s[20:21], -v[30:31]
	;; [unrolled: 1-line block ×3, first 2 shown]
	v_fma_f64 v[26:27], v[26:27], s[0:1], v[28:29]
	v_fma_f64 v[28:29], v[136:137], s[0:1], v[30:31]
	v_fma_f64 v[138:139], v[138:139], s[10:11], v[6:7]
	v_fma_f64 v[14:15], v[160:161], s[2:3], v[12:13]
	v_fma_f64 v[18:19], v[130:131], s[22:23], -v[18:19]
	v_fma_f64 v[8:9], v[24:25], s[12:13], -v[8:9]
	;; [unrolled: 1-line block ×3, first 2 shown]
	v_fma_f64 v[24:25], v[160:161], s[2:3], v[16:17]
	v_add_f64_e32 v[26:27], v[26:27], v[134:135]
	v_add_f64_e32 v[132:133], v[22:23], v[138:139]
	;; [unrolled: 1-line block ×3, first 2 shown]
	v_fma_f64 v[16:17], v[162:163], s[2:3], v[18:19]
	v_add_f64_e32 v[18:19], v[20:21], v[134:135]
	v_fma_f64 v[12:13], v[162:163], s[2:3], v[12:13]
	v_add_f64_e32 v[166:167], v[8:9], v[134:135]
	v_add_f64_e32 v[168:169], v[10:11], v[138:139]
	v_add_f64_e64 v[22:23], v[132:133], -v[24:25]
	v_add_f64_e32 v[20:21], v[16:17], v[18:19]
	v_add_f64_e64 v[16:17], v[18:19], -v[16:17]
	v_add_f64_e32 v[18:19], v[24:25], v[132:133]
	v_fma_f64 v[24:25], v[128:129], s[16:17], v[164:165]
	v_fma_f64 v[128:129], v[130:131], s[16:17], v[142:143]
	v_add_f64_e64 v[8:9], v[166:167], -v[12:13]
	v_add_f64_e32 v[10:11], v[14:15], v[168:169]
	v_add_f64_e32 v[12:13], v[12:13], v[166:167]
	v_add_f64_e64 v[14:15], v[168:169], -v[14:15]
	v_fma_f64 v[30:31], v[160:161], s[2:3], v[24:25]
	v_fma_f64 v[24:25], v[162:163], s[2:3], v[128:129]
	s_delay_alu instid0(VALU_DEP_2) | instskip(NEXT) | instid1(VALU_DEP_2)
	v_add_f64_e64 v[130:131], v[28:29], -v[30:31]
	v_add_f64_e32 v[128:129], v[24:25], v[26:27]
	v_add_f64_e64 v[24:25], v[26:27], -v[24:25]
	v_add_f64_e32 v[26:27], v[30:31], v[28:29]
	v_lshrrev_b32_e32 v28, 2, v144
	s_delay_alu instid0(VALU_DEP_1) | instskip(NEXT) | instid1(VALU_DEP_1)
	v_mul_u32_u24_e32 v28, 28, v28
	v_or_b32_e32 v28, v28, v150
	s_delay_alu instid0(VALU_DEP_1)
	v_lshl_add_u32 v146, v28, 4, 0
	ds_load_b128 v[132:135], v250
	ds_load_b128 v[136:139], v249
	ds_load_b128 v[140:143], v248
	ds_load_b128 v[28:31], v246
	global_wb scope:SCOPE_SE
	s_wait_dscnt 0x0
	s_barrier_signal -1
	s_barrier_wait -1
	global_inv scope:SCOPE_SE
	ds_store_b128 v146, v[4:7]
	ds_store_b128 v146, v[128:131] offset:64
	ds_store_b128 v146, v[20:23] offset:128
	;; [unrolled: 1-line block ×6, first 2 shown]
	v_add_f64_e32 v[16:17], v[98:99], v[126:127]
	v_add_f64_e32 v[8:9], v[106:107], v[122:123]
	;; [unrolled: 1-line block ×6, first 2 shown]
	v_add_f64_e64 v[24:25], v[106:107], -v[122:123]
	v_add_f64_e64 v[26:27], v[118:119], -v[114:115]
	;; [unrolled: 1-line block ×6, first 2 shown]
	v_add_f64_e32 v[4:5], v[8:9], v[16:17]
	v_add_f64_e64 v[112:113], v[8:9], -v[16:17]
	v_add_f64_e64 v[114:115], v[18:19], -v[8:9]
	;; [unrolled: 1-line block ×5, first 2 shown]
	v_add_f64_e32 v[8:9], v[26:27], v[24:25]
	v_add_f64_e32 v[120:121], v[106:107], v[104:105]
	v_add_f64_e64 v[122:123], v[106:107], -v[104:105]
	v_add_f64_e64 v[104:105], v[104:105], -v[96:97]
	v_add_f64_e32 v[10:11], v[18:19], v[4:5]
	v_add_f64_e32 v[4:5], v[12:13], v[20:21]
	v_add_f64_e64 v[12:13], v[26:27], -v[24:25]
	v_add_f64_e64 v[24:25], v[24:25], -v[98:99]
	;; [unrolled: 1-line block ×4, first 2 shown]
	v_add_f64_e32 v[124:125], v[8:9], v[98:99]
	v_mul_f64_e32 v[8:9], s[0:1], v[114:115]
	v_add_f64_e32 v[120:121], v[120:121], v[96:97]
	v_add_f64_e64 v[96:97], v[96:97], -v[106:107]
	v_mul_f64_e32 v[122:123], s[14:15], v[122:123]
	v_add_f64_e32 v[14:15], v[22:23], v[4:5]
	v_add_f64_e32 v[4:5], v[132:133], v[10:11]
	v_mul_f64_e32 v[126:127], s[14:15], v[12:13]
	v_mul_f64_e32 v[20:21], s[6:7], v[24:25]
	v_mul_f64_e32 v[22:23], s[6:7], v[104:105]
	v_mul_f64_e32 v[98:99], s[18:19], v[18:19]
	v_mul_f64_e32 v[12:13], s[0:1], v[118:119]
	v_fma_f64 v[8:9], v[112:113], s[12:13], -v[8:9]
	v_add_f64_e32 v[6:7], v[134:135], v[14:15]
	v_fma_f64 v[128:129], v[10:11], s[10:11], v[4:5]
	v_fma_f64 v[10:11], v[24:25], s[6:7], -v[126:127]
	v_mul_f64_e32 v[24:25], s[18:19], v[16:17]
	v_fma_f64 v[16:17], v[26:27], s[22:23], -v[20:21]
	v_fma_f64 v[18:19], v[96:97], s[22:23], -v[22:23]
	;; [unrolled: 1-line block ×3, first 2 shown]
	v_fma_f64 v[26:27], v[26:27], s[16:17], v[126:127]
	v_fma_f64 v[96:97], v[96:97], s[16:17], v[122:123]
	;; [unrolled: 1-line block ×3, first 2 shown]
	v_fma_f64 v[12:13], v[116:117], s[12:13], -v[12:13]
	v_fma_f64 v[130:131], v[14:15], s[10:11], v[6:7]
	v_add_f64_e32 v[134:135], v[8:9], v[128:129]
	v_fma_f64 v[14:15], v[124:125], s[2:3], v[10:11]
	v_fma_f64 v[20:21], v[112:113], s[20:21], -v[24:25]
	v_fma_f64 v[10:11], v[104:105], s[6:7], -v[122:123]
	v_fma_f64 v[104:105], v[124:125], s[2:3], v[16:17]
	v_fma_f64 v[106:107], v[120:121], s[2:3], v[18:19]
	;; [unrolled: 1-line block ×4, first 2 shown]
	v_add_f64_e32 v[22:23], v[22:23], v[130:131]
	v_add_f64_e32 v[98:99], v[98:99], v[130:131]
	;; [unrolled: 1-line block ×4, first 2 shown]
	v_fma_f64 v[132:133], v[120:121], s[2:3], v[10:11]
	v_add_f64_e64 v[18:19], v[22:23], -v[104:105]
	v_add_f64_e32 v[22:23], v[104:105], v[22:23]
	v_fma_f64 v[104:105], v[124:125], s[2:3], v[26:27]
	v_add_f64_e32 v[16:17], v[106:107], v[20:21]
	v_add_f64_e64 v[20:21], v[20:21], -v[106:107]
	v_add_f64_e32 v[106:107], v[24:25], v[128:129]
	v_add_f64_e64 v[8:9], v[134:135], -v[132:133]
	v_add_f64_e32 v[10:11], v[14:15], v[158:159]
	v_add_f64_e32 v[12:13], v[132:133], v[134:135]
	v_add_f64_e64 v[14:15], v[158:159], -v[14:15]
	v_add_f64_e64 v[26:27], v[98:99], -v[104:105]
	v_add_f64_e32 v[98:99], v[104:105], v[98:99]
	v_lshrrev_b32_e32 v104, 2, v149
	v_add_f64_e32 v[24:25], v[96:97], v[106:107]
	v_add_f64_e64 v[96:97], v[106:107], -v[96:97]
	s_delay_alu instid0(VALU_DEP_3) | instskip(NEXT) | instid1(VALU_DEP_1)
	v_mul_lo_u32 v104, v104, 28
	v_or_b32_e32 v104, v104, v150
	s_delay_alu instid0(VALU_DEP_1)
	v_lshl_add_u32 v104, v104, 4, 0
	ds_store_b128 v104, v[4:7]
	ds_store_b128 v104, v[24:27] offset:64
	ds_store_b128 v104, v[16:19] offset:128
	;; [unrolled: 1-line block ×6, first 2 shown]
	v_add_f64_e32 v[16:17], v[74:75], v[110:111]
	v_add_f64_e32 v[8:9], v[82:83], v[102:103]
	;; [unrolled: 1-line block ×6, first 2 shown]
	v_add_f64_e64 v[24:25], v[82:83], -v[102:103]
	v_add_f64_e64 v[26:27], v[94:95], -v[90:91]
	;; [unrolled: 1-line block ×6, first 2 shown]
	v_add_f64_e32 v[4:5], v[8:9], v[16:17]
	v_add_f64_e64 v[88:89], v[8:9], -v[16:17]
	v_add_f64_e64 v[90:91], v[18:19], -v[8:9]
	;; [unrolled: 1-line block ×5, first 2 shown]
	v_add_f64_e32 v[8:9], v[26:27], v[24:25]
	v_add_f64_e32 v[96:97], v[82:83], v[80:81]
	v_add_f64_e64 v[98:99], v[82:83], -v[80:81]
	v_add_f64_e64 v[80:81], v[80:81], -v[72:73]
	v_add_f64_e32 v[10:11], v[18:19], v[4:5]
	v_add_f64_e32 v[4:5], v[12:13], v[20:21]
	v_add_f64_e64 v[12:13], v[26:27], -v[24:25]
	v_add_f64_e64 v[24:25], v[24:25], -v[74:75]
	;; [unrolled: 1-line block ×4, first 2 shown]
	v_add_f64_e32 v[100:101], v[8:9], v[74:75]
	v_mul_f64_e32 v[8:9], s[0:1], v[90:91]
	v_add_f64_e32 v[96:97], v[96:97], v[72:73]
	v_add_f64_e64 v[72:73], v[72:73], -v[82:83]
	v_mul_f64_e32 v[98:99], s[14:15], v[98:99]
	v_add_f64_e32 v[14:15], v[22:23], v[4:5]
	v_add_f64_e32 v[4:5], v[136:137], v[10:11]
	v_mul_f64_e32 v[102:103], s[14:15], v[12:13]
	v_mul_f64_e32 v[20:21], s[6:7], v[24:25]
	;; [unrolled: 1-line block ×5, first 2 shown]
	v_fma_f64 v[8:9], v[88:89], s[12:13], -v[8:9]
	v_add_f64_e32 v[6:7], v[138:139], v[14:15]
	v_fma_f64 v[104:105], v[10:11], s[10:11], v[4:5]
	v_fma_f64 v[10:11], v[24:25], s[6:7], -v[102:103]
	v_mul_f64_e32 v[24:25], s[18:19], v[16:17]
	v_fma_f64 v[16:17], v[26:27], s[22:23], -v[20:21]
	v_fma_f64 v[18:19], v[72:73], s[22:23], -v[22:23]
	v_fma_f64 v[22:23], v[92:93], s[20:21], -v[74:75]
	v_fma_f64 v[26:27], v[26:27], s[16:17], v[102:103]
	v_fma_f64 v[72:73], v[72:73], s[16:17], v[98:99]
	;; [unrolled: 1-line block ×3, first 2 shown]
	v_fma_f64 v[12:13], v[92:93], s[12:13], -v[12:13]
	v_fma_f64 v[106:107], v[14:15], s[10:11], v[6:7]
	v_add_f64_e32 v[110:111], v[8:9], v[104:105]
	v_fma_f64 v[14:15], v[100:101], s[2:3], v[10:11]
	v_fma_f64 v[20:21], v[88:89], s[20:21], -v[24:25]
	v_fma_f64 v[10:11], v[80:81], s[6:7], -v[98:99]
	v_fma_f64 v[80:81], v[100:101], s[2:3], v[16:17]
	v_fma_f64 v[82:83], v[96:97], s[2:3], v[18:19]
	v_fma_f64 v[24:25], v[90:91], s[0:1], v[24:25]
	v_fma_f64 v[72:73], v[96:97], s[2:3], v[72:73]
	v_add_f64_e32 v[22:23], v[22:23], v[106:107]
	v_add_f64_e32 v[74:75], v[74:75], v[106:107]
	;; [unrolled: 1-line block ×4, first 2 shown]
	v_fma_f64 v[108:109], v[96:97], s[2:3], v[10:11]
	v_add_f64_e64 v[18:19], v[22:23], -v[80:81]
	v_add_f64_e32 v[22:23], v[80:81], v[22:23]
	v_fma_f64 v[80:81], v[100:101], s[2:3], v[26:27]
	v_add_f64_e32 v[16:17], v[82:83], v[20:21]
	v_add_f64_e64 v[20:21], v[20:21], -v[82:83]
	v_add_f64_e32 v[82:83], v[24:25], v[104:105]
	v_add_f64_e64 v[8:9], v[110:111], -v[108:109]
	v_add_f64_e32 v[10:11], v[14:15], v[112:113]
	v_add_f64_e32 v[12:13], v[108:109], v[110:111]
	v_add_f64_e64 v[14:15], v[112:113], -v[14:15]
	v_add_f64_e64 v[26:27], v[74:75], -v[80:81]
	v_add_f64_e32 v[74:75], v[80:81], v[74:75]
	v_lshrrev_b32_e32 v80, 2, v195
	v_add_f64_e32 v[24:25], v[72:73], v[82:83]
	v_add_f64_e64 v[72:73], v[82:83], -v[72:73]
	s_delay_alu instid0(VALU_DEP_3) | instskip(NEXT) | instid1(VALU_DEP_1)
	v_mul_lo_u32 v80, v80, 28
	v_or_b32_e32 v80, v80, v150
	s_delay_alu instid0(VALU_DEP_1)
	v_lshl_add_u32 v80, v80, 4, 0
	ds_store_b128 v80, v[4:7]
	ds_store_b128 v80, v[24:27] offset:64
	ds_store_b128 v80, v[16:19] offset:128
	ds_store_b128 v80, v[8:11] offset:192
	ds_store_b128 v80, v[12:15] offset:256
	ds_store_b128 v80, v[20:23] offset:320
	ds_store_b128 v80, v[72:75] offset:384
	v_add_f64_e32 v[16:17], v[50:51], v[86:87]
	v_add_f64_e32 v[8:9], v[58:59], v[78:79]
	;; [unrolled: 1-line block ×6, first 2 shown]
	v_add_f64_e64 v[24:25], v[58:59], -v[78:79]
	v_add_f64_e64 v[26:27], v[70:71], -v[66:67]
	;; [unrolled: 1-line block ×6, first 2 shown]
	v_add_f64_e32 v[4:5], v[8:9], v[16:17]
	v_add_f64_e64 v[64:65], v[8:9], -v[16:17]
	v_add_f64_e64 v[66:67], v[18:19], -v[8:9]
	;; [unrolled: 1-line block ×5, first 2 shown]
	v_add_f64_e32 v[8:9], v[26:27], v[24:25]
	v_add_f64_e32 v[72:73], v[58:59], v[56:57]
	v_add_f64_e64 v[74:75], v[58:59], -v[56:57]
	v_add_f64_e64 v[56:57], v[56:57], -v[48:49]
	v_add_f64_e32 v[10:11], v[18:19], v[4:5]
	v_add_f64_e32 v[4:5], v[12:13], v[20:21]
	v_add_f64_e64 v[12:13], v[26:27], -v[24:25]
	v_add_f64_e64 v[24:25], v[24:25], -v[50:51]
	;; [unrolled: 1-line block ×4, first 2 shown]
	v_add_f64_e32 v[76:77], v[8:9], v[50:51]
	v_mul_f64_e32 v[8:9], s[0:1], v[66:67]
	v_add_f64_e32 v[72:73], v[72:73], v[48:49]
	v_add_f64_e64 v[48:49], v[48:49], -v[58:59]
	v_mul_f64_e32 v[74:75], s[14:15], v[74:75]
	v_add_f64_e32 v[14:15], v[22:23], v[4:5]
	v_add_f64_e32 v[4:5], v[140:141], v[10:11]
	v_mul_f64_e32 v[78:79], s[14:15], v[12:13]
	v_mul_f64_e32 v[20:21], s[6:7], v[24:25]
	;; [unrolled: 1-line block ×5, first 2 shown]
	v_fma_f64 v[8:9], v[64:65], s[12:13], -v[8:9]
	v_add_f64_e32 v[6:7], v[142:143], v[14:15]
	v_fma_f64 v[80:81], v[10:11], s[10:11], v[4:5]
	v_fma_f64 v[10:11], v[24:25], s[6:7], -v[78:79]
	v_mul_f64_e32 v[24:25], s[18:19], v[16:17]
	v_fma_f64 v[16:17], v[26:27], s[22:23], -v[20:21]
	v_fma_f64 v[18:19], v[48:49], s[22:23], -v[22:23]
	;; [unrolled: 1-line block ×3, first 2 shown]
	v_fma_f64 v[26:27], v[26:27], s[16:17], v[78:79]
	v_fma_f64 v[48:49], v[48:49], s[16:17], v[74:75]
	;; [unrolled: 1-line block ×3, first 2 shown]
	v_fma_f64 v[12:13], v[68:69], s[12:13], -v[12:13]
	v_fma_f64 v[82:83], v[14:15], s[10:11], v[6:7]
	v_add_f64_e32 v[86:87], v[8:9], v[80:81]
	v_fma_f64 v[14:15], v[76:77], s[2:3], v[10:11]
	v_fma_f64 v[20:21], v[64:65], s[20:21], -v[24:25]
	v_fma_f64 v[10:11], v[56:57], s[6:7], -v[74:75]
	v_fma_f64 v[56:57], v[76:77], s[2:3], v[16:17]
	v_fma_f64 v[58:59], v[72:73], s[2:3], v[18:19]
	;; [unrolled: 1-line block ×4, first 2 shown]
	v_add_f64_e32 v[22:23], v[22:23], v[82:83]
	v_add_f64_e32 v[50:51], v[50:51], v[82:83]
	v_add_f64_e32 v[88:89], v[12:13], v[82:83]
	v_add_f64_e32 v[20:21], v[20:21], v[80:81]
	v_fma_f64 v[84:85], v[72:73], s[2:3], v[10:11]
	v_add_f64_e64 v[18:19], v[22:23], -v[56:57]
	v_add_f64_e32 v[22:23], v[56:57], v[22:23]
	v_fma_f64 v[56:57], v[76:77], s[2:3], v[26:27]
	v_add_f64_e32 v[16:17], v[58:59], v[20:21]
	v_add_f64_e64 v[20:21], v[20:21], -v[58:59]
	v_add_f64_e32 v[58:59], v[24:25], v[80:81]
	v_add_f64_e64 v[8:9], v[86:87], -v[84:85]
	v_add_f64_e32 v[10:11], v[14:15], v[88:89]
	v_add_f64_e32 v[12:13], v[84:85], v[86:87]
	v_add_f64_e64 v[14:15], v[88:89], -v[14:15]
	v_add_f64_e64 v[26:27], v[50:51], -v[56:57]
	v_add_f64_e32 v[50:51], v[56:57], v[50:51]
	v_lshrrev_b32_e32 v56, 2, v194
	v_add_f64_e32 v[24:25], v[48:49], v[58:59]
	v_add_f64_e64 v[48:49], v[58:59], -v[48:49]
	s_delay_alu instid0(VALU_DEP_3) | instskip(NEXT) | instid1(VALU_DEP_1)
	v_mul_lo_u32 v56, v56, 28
	v_or_b32_e32 v56, v56, v150
	s_delay_alu instid0(VALU_DEP_1)
	v_lshl_add_u32 v56, v56, 4, 0
	ds_store_b128 v56, v[4:7]
	ds_store_b128 v56, v[24:27] offset:64
	ds_store_b128 v56, v[16:19] offset:128
	;; [unrolled: 1-line block ×6, first 2 shown]
	v_add_f64_e32 v[4:5], v[34:35], v[62:63]
	v_add_f64_e32 v[6:7], v[38:39], v[54:55]
	;; [unrolled: 1-line block ×6, first 2 shown]
	v_add_f64_e64 v[18:19], v[38:39], -v[54:55]
	v_add_f64_e64 v[26:27], v[46:47], -v[42:43]
	;; [unrolled: 1-line block ×3, first 2 shown]
	v_add_f64_e32 v[8:9], v[6:7], v[4:5]
	v_add_f64_e64 v[38:39], v[14:15], -v[22:23]
	s_delay_alu instid0(VALU_DEP_4) | instskip(NEXT) | instid1(VALU_DEP_3)
	v_add_f64_e64 v[42:43], v[26:27], -v[18:19]
	v_add_f64_e32 v[12:13], v[20:21], v[8:9]
	v_add_f64_e32 v[8:9], v[14:15], v[22:23]
	s_delay_alu instid0(VALU_DEP_3) | instskip(NEXT) | instid1(VALU_DEP_2)
	v_mul_f64_e32 v[42:43], s[14:15], v[42:43]
	v_add_f64_e32 v[16:17], v[24:25], v[8:9]
	s_delay_alu instid0(VALU_DEP_4)
	v_add_f64_e32 v[8:9], v[28:29], v[12:13]
	v_add_f64_e64 v[28:29], v[34:35], -v[62:63]
	v_add_f64_e64 v[34:35], v[44:45], -v[40:41]
	;; [unrolled: 1-line block ×3, first 2 shown]
	v_add_f64_e32 v[14:15], v[26:27], v[18:19]
	v_add_f64_e32 v[10:11], v[30:31], v[16:17]
	v_add_f64_e64 v[30:31], v[36:37], -v[52:53]
	v_add_f64_e64 v[44:45], v[18:19], -v[28:29]
	;; [unrolled: 1-line block ×4, first 2 shown]
	v_add_f64_e32 v[48:49], v[14:15], v[28:29]
	v_fma_f64 v[52:53], v[12:13], s[10:11], v[8:9]
	v_add_f64_e64 v[4:5], v[4:5], -v[20:21]
	v_add_f64_e64 v[20:21], v[22:23], -v[24:25]
	;; [unrolled: 1-line block ×3, first 2 shown]
	v_fma_f64 v[54:55], v[16:17], s[10:11], v[10:11]
	v_add_f64_e64 v[46:47], v[34:35], -v[30:31]
	v_add_f64_e32 v[18:19], v[34:35], v[30:31]
	v_add_f64_e64 v[30:31], v[30:31], -v[32:33]
	v_fma_f64 v[12:13], v[44:45], s[6:7], -v[42:43]
	v_mul_f64_e32 v[22:23], s[6:7], v[44:45]
	v_mul_f64_e32 v[14:15], s[0:1], v[6:7]
	;; [unrolled: 1-line block ×4, first 2 shown]
	v_add_f64_e32 v[50:51], v[18:19], v[32:33]
	v_mul_f64_e32 v[24:25], s[6:7], v[30:31]
	v_fma_f64 v[56:57], v[48:49], s[2:3], v[12:13]
	v_add_f64_e64 v[32:33], v[32:33], -v[34:35]
	v_fma_f64 v[14:15], v[36:37], s[12:13], -v[14:15]
	v_mul_f64_e32 v[18:19], s[0:1], v[40:41]
	v_fma_f64 v[12:13], v[30:31], s[6:7], -v[46:47]
	v_mul_f64_e32 v[30:31], s[18:19], v[20:21]
	v_fma_f64 v[20:21], v[28:29], s[22:23], -v[22:23]
	v_fma_f64 v[28:29], v[28:29], s[16:17], v[42:43]
	v_fma_f64 v[22:23], v[32:33], s[22:23], -v[24:25]
	v_fma_f64 v[24:25], v[36:37], s[20:21], -v[4:5]
	v_fma_f64 v[32:33], v[32:33], s[16:17], v[46:47]
	v_fma_f64 v[4:5], v[6:7], s[0:1], v[4:5]
	v_fma_f64 v[18:19], v[38:39], s[12:13], -v[18:19]
	v_add_f64_e32 v[58:59], v[14:15], v[52:53]
	v_fma_f64 v[16:17], v[50:51], s[2:3], v[12:13]
	v_fma_f64 v[26:27], v[38:39], s[20:21], -v[30:31]
	v_fma_f64 v[34:35], v[48:49], s[2:3], v[20:21]
	v_fma_f64 v[6:7], v[40:41], s[0:1], v[30:31]
	;; [unrolled: 1-line block ×3, first 2 shown]
	v_add_f64_e32 v[24:25], v[24:25], v[52:53]
	v_fma_f64 v[32:33], v[50:51], s[2:3], v[32:33]
	v_add_f64_e32 v[4:5], v[4:5], v[52:53]
	v_add_f64_e32 v[18:19], v[18:19], v[54:55]
	v_cmp_gt_u32_e64 s0, 28, v144
	v_add_f64_e64 v[12:13], v[58:59], -v[16:17]
	v_add_f64_e32 v[26:27], v[26:27], v[54:55]
	v_add_f64_e32 v[16:17], v[16:17], v[58:59]
	;; [unrolled: 1-line block ×4, first 2 shown]
	v_add_f64_e64 v[24:25], v[24:25], -v[36:37]
	v_add_f64_e32 v[14:15], v[56:57], v[18:19]
	v_add_f64_e64 v[18:19], v[18:19], -v[56:57]
	v_add_f64_e64 v[22:23], v[26:27], -v[34:35]
	v_add_f64_e32 v[26:27], v[34:35], v[26:27]
	v_fma_f64 v[34:35], v[48:49], s[2:3], v[28:29]
	v_add_f64_e32 v[28:29], v[32:33], v[4:5]
	v_add_f64_e64 v[4:5], v[4:5], -v[32:33]
	v_lshrrev_b32_e32 v32, 2, v193
	s_delay_alu instid0(VALU_DEP_1) | instskip(NEXT) | instid1(VALU_DEP_1)
	v_mul_lo_u32 v32, v32, 28
	v_or_b32_e32 v32, v32, v150
	s_delay_alu instid0(VALU_DEP_1)
	v_lshl_add_u32 v32, v32, 4, 0
	v_add_f64_e64 v[30:31], v[6:7], -v[34:35]
	ds_store_b128 v32, v[8:11]
	ds_store_b128 v32, v[28:31] offset:64
	ds_store_b128 v32, v[20:23] offset:128
	scratch_load_b64 v[8:9], off, off offset:8 ; 8-byte Folded Reload
	v_add_f64_e32 v[6:7], v[34:35], v[6:7]
	ds_store_b128 v32, v[12:15] offset:192
	s_wait_loadcnt 0x0
	v_lshl_add_u32 v253, v8, 4, 0
	scratch_load_b64 v[8:9], off, off       ; 8-byte Folded Reload
	s_wait_loadcnt 0x0
	v_lshl_add_u32 v252, v8, 4, 0
	scratch_load_b64 v[8:9], off, off offset:24 ; 8-byte Folded Reload
	ds_store_b128 v32, v[16:19] offset:256
	ds_store_b128 v32, v[24:27] offset:320
	ds_store_b128 v32, v[4:7] offset:384
	global_wb scope:SCOPE_SE
	s_wait_loadcnt_dscnt 0x0
	s_barrier_signal -1
	s_barrier_wait -1
	global_inv scope:SCOPE_SE
	v_lshl_add_u32 v251, v8, 4, 0
	ds_load_b128 v[48:51], v157
	ds_load_b128 v[68:71], v250
	;; [unrolled: 1-line block ×3, first 2 shown]
	ds_load_b128 v[136:139], v247 offset:16576
	ds_load_b128 v[132:135], v247 offset:17472
	ds_load_b128 v[60:63], v248
	ds_load_b128 v[56:59], v246
	ds_load_b128 v[128:131], v247 offset:18368
	ds_load_b128 v[124:127], v247 offset:19264
	;; [unrolled: 1-line block ×4, first 2 shown]
	ds_load_b128 v[52:55], v253
	ds_load_b128 v[44:47], v252
	;; [unrolled: 1-line block ×3, first 2 shown]
	ds_load_b128 v[112:115], v247 offset:21952
	ds_load_b128 v[108:111], v247 offset:22848
	ds_load_b128 v[72:75], v247
	ds_load_b128 v[36:39], v247 offset:8064
	ds_load_b128 v[104:107], v247 offset:23744
	;; [unrolled: 1-line block ×17, first 2 shown]
	s_and_saveexec_b32 s1, s0
	s_cbranch_execz .LBB0_17
; %bb.16:
	ds_load_b128 v[4:7], v247 offset:15232
	ds_load_b128 v[0:3], v247 offset:30912
.LBB0_17:
	s_wait_alu 0xfffe
	s_or_b32 exec_lo, exec_lo, s1
	v_subrev_nc_u32_e32 v146, 28, v144
	s_delay_alu instid0(VALU_DEP_1) | instskip(SKIP_1) | instid1(VALU_DEP_1)
	v_cndmask_b32_e64 v157, v146, v144, s0
	v_lshrrev_b16 v146, 2, v149
	v_and_b32_e32 v146, 63, v146
	s_delay_alu instid0(VALU_DEP_1) | instskip(NEXT) | instid1(VALU_DEP_1)
	v_mul_lo_u16 v146, v146, 37
	v_lshrrev_b16 v150, 8, v146
	s_delay_alu instid0(VALU_DEP_1) | instskip(NEXT) | instid1(VALU_DEP_1)
	v_mul_lo_u16 v146, v150, 28
	v_sub_nc_u16 v146, v149, v146
	s_delay_alu instid0(VALU_DEP_1) | instskip(NEXT) | instid1(VALU_DEP_1)
	v_and_b32_e32 v146, 0xff, v146
	v_dual_mov_b32 v158, 0 :: v_dual_lshlrev_b32 v161, 4, v146
	s_delay_alu instid0(VALU_DEP_1) | instskip(NEXT) | instid1(VALU_DEP_1)
	v_lshlrev_b64_e32 v[159:160], 4, v[157:158]
	v_add_co_u32 v159, s1, s4, v159
	s_wait_alu 0xf1ff
	s_delay_alu instid0(VALU_DEP_2)
	v_add_co_ci_u32_e64 v160, s1, s5, v160, s1
	v_cmp_lt_u32_e64 s1, 27, v144
	s_clause 0x1
	global_load_b128 v[162:165], v[159:160], off offset:384
	global_load_b128 v[166:169], v161, s[4:5] offset:384
	s_wait_loadcnt_dscnt 0x103
	v_mul_f64_e32 v[159:160], v[142:143], v[164:165]
	s_delay_alu instid0(VALU_DEP_1) | instskip(SKIP_1) | instid1(VALU_DEP_1)
	v_fma_f64 v[159:160], v[140:141], v[162:163], v[159:160]
	v_mul_f64_e32 v[140:141], v[140:141], v[164:165]
	v_fma_f64 v[142:143], v[142:143], v[162:163], -v[140:141]
	s_wait_loadcnt 0x0
	v_mul_f64_e32 v[140:141], v[138:139], v[168:169]
	s_delay_alu instid0(VALU_DEP_1) | instskip(SKIP_1) | instid1(VALU_DEP_1)
	v_fma_f64 v[140:141], v[136:137], v[166:167], v[140:141]
	v_mul_f64_e32 v[136:137], v[136:137], v[168:169]
	v_fma_f64 v[136:137], v[138:139], v[166:167], -v[136:137]
	v_lshrrev_b16 v138, 2, v195
	v_lshrrev_b16 v139, 2, v194
	s_delay_alu instid0(VALU_DEP_2) | instskip(NEXT) | instid1(VALU_DEP_2)
	v_and_b32_e32 v138, 63, v138
	v_and_b32_e32 v139, 63, v139
	s_delay_alu instid0(VALU_DEP_2) | instskip(NEXT) | instid1(VALU_DEP_2)
	v_mul_lo_u16 v138, v138, 37
	v_mul_lo_u16 v139, v139, 37
	s_delay_alu instid0(VALU_DEP_2) | instskip(NEXT) | instid1(VALU_DEP_2)
	v_lshrrev_b16 v164, 8, v138
	v_lshrrev_b16 v162, 8, v139
	s_delay_alu instid0(VALU_DEP_2) | instskip(NEXT) | instid1(VALU_DEP_2)
	v_mul_lo_u16 v138, v164, 28
	v_mul_lo_u16 v139, v162, 28
	s_delay_alu instid0(VALU_DEP_2) | instskip(NEXT) | instid1(VALU_DEP_2)
	v_sub_nc_u16 v138, v195, v138
	v_sub_nc_u16 v139, v194, v139
	s_delay_alu instid0(VALU_DEP_2) | instskip(NEXT) | instid1(VALU_DEP_2)
	v_and_b32_e32 v138, 0xff, v138
	v_and_b32_e32 v139, 0xff, v139
	s_delay_alu instid0(VALU_DEP_2) | instskip(NEXT) | instid1(VALU_DEP_2)
	v_lshlrev_b32_e32 v165, 4, v138
	v_lshlrev_b32_e32 v163, 4, v139
	s_clause 0x1
	global_load_b128 v[166:169], v165, s[4:5] offset:384
	global_load_b128 v[170:173], v163, s[4:5] offset:384
	scratch_load_b64 v[191:192], off, off offset:16 ; 8-byte Folded Reload
	s_wait_loadcnt 0x2
	v_mul_f64_e32 v[138:139], v[134:135], v[168:169]
	s_delay_alu instid0(VALU_DEP_1) | instskip(SKIP_1) | instid1(VALU_DEP_1)
	v_fma_f64 v[138:139], v[132:133], v[166:167], v[138:139]
	v_mul_f64_e32 v[132:133], v[132:133], v[168:169]
	v_fma_f64 v[134:135], v[134:135], v[166:167], -v[132:133]
	s_wait_loadcnt 0x1
	v_mul_f64_e32 v[132:133], v[130:131], v[172:173]
	s_delay_alu instid0(VALU_DEP_1) | instskip(SKIP_1) | instid1(VALU_DEP_1)
	v_fma_f64 v[132:133], v[128:129], v[170:171], v[132:133]
	v_mul_f64_e32 v[128:129], v[128:129], v[172:173]
	v_fma_f64 v[128:129], v[130:131], v[170:171], -v[128:129]
	v_lshrrev_b16 v130, 2, v193
	s_wait_loadcnt 0x0
	v_lshrrev_b16 v131, 2, v191
	s_delay_alu instid0(VALU_DEP_2) | instskip(NEXT) | instid1(VALU_DEP_2)
	v_and_b32_e32 v130, 0xffff, v130
	v_and_b32_e32 v131, 0xffff, v131
	s_delay_alu instid0(VALU_DEP_2) | instskip(NEXT) | instid1(VALU_DEP_2)
	v_mul_u32_u24_e32 v130, 0x4925, v130
	v_mul_u32_u24_e32 v131, 0x4925, v131
	s_delay_alu instid0(VALU_DEP_2) | instskip(NEXT) | instid1(VALU_DEP_2)
	v_lshrrev_b32_e32 v167, 17, v130
	v_lshrrev_b32_e32 v166, 17, v131
	s_delay_alu instid0(VALU_DEP_2) | instskip(NEXT) | instid1(VALU_DEP_2)
	v_mul_lo_u16 v130, v167, 28
	v_mul_lo_u16 v131, v166, 28
	s_delay_alu instid0(VALU_DEP_2) | instskip(NEXT) | instid1(VALU_DEP_2)
	v_sub_nc_u16 v130, v193, v130
	v_sub_nc_u16 v131, v191, v131
	s_delay_alu instid0(VALU_DEP_2) | instskip(NEXT) | instid1(VALU_DEP_2)
	v_and_b32_e32 v130, 0xffff, v130
	v_and_b32_e32 v131, 0xffff, v131
	s_delay_alu instid0(VALU_DEP_2) | instskip(NEXT) | instid1(VALU_DEP_2)
	v_lshlrev_b32_e32 v169, 4, v130
	v_lshlrev_b32_e32 v168, 4, v131
	s_clause 0x1
	global_load_b128 v[170:173], v169, s[4:5] offset:384
	global_load_b128 v[174:177], v168, s[4:5] offset:384
	s_clause 0x1
	scratch_load_b64 v[189:190], off, off offset:8
	scratch_load_b64 v[146:147], off, off
	s_wait_loadcnt 0x3
	v_mul_f64_e32 v[130:131], v[126:127], v[172:173]
	s_delay_alu instid0(VALU_DEP_1) | instskip(SKIP_1) | instid1(VALU_DEP_1)
	v_fma_f64 v[130:131], v[124:125], v[170:171], v[130:131]
	v_mul_f64_e32 v[124:125], v[124:125], v[172:173]
	v_fma_f64 v[126:127], v[126:127], v[170:171], -v[124:125]
	s_wait_loadcnt 0x2
	v_mul_f64_e32 v[124:125], v[122:123], v[176:177]
	s_delay_alu instid0(VALU_DEP_1) | instskip(SKIP_1) | instid1(VALU_DEP_1)
	v_fma_f64 v[124:125], v[120:121], v[174:175], v[124:125]
	v_mul_f64_e32 v[120:121], v[120:121], v[176:177]
	v_fma_f64 v[120:121], v[122:123], v[174:175], -v[120:121]
	s_wait_loadcnt 0x1
	v_lshrrev_b16 v122, 2, v189
	s_wait_loadcnt 0x0
	v_lshrrev_b16 v123, 2, v146
	s_delay_alu instid0(VALU_DEP_2) | instskip(NEXT) | instid1(VALU_DEP_2)
	v_and_b32_e32 v122, 0xffff, v122
	v_and_b32_e32 v123, 0xffff, v123
	s_delay_alu instid0(VALU_DEP_2) | instskip(NEXT) | instid1(VALU_DEP_2)
	v_mul_u32_u24_e32 v122, 0x4925, v122
	v_mul_u32_u24_e32 v123, 0x4925, v123
	s_delay_alu instid0(VALU_DEP_2) | instskip(NEXT) | instid1(VALU_DEP_2)
	v_lshrrev_b32_e32 v171, 17, v122
	v_lshrrev_b32_e32 v170, 17, v123
	s_delay_alu instid0(VALU_DEP_2) | instskip(NEXT) | instid1(VALU_DEP_2)
	v_mul_lo_u16 v122, v171, 28
	v_mul_lo_u16 v123, v170, 28
	s_delay_alu instid0(VALU_DEP_2) | instskip(NEXT) | instid1(VALU_DEP_2)
	v_sub_nc_u16 v122, v189, v122
	v_sub_nc_u16 v123, v146, v123
	s_delay_alu instid0(VALU_DEP_2) | instskip(NEXT) | instid1(VALU_DEP_2)
	v_and_b32_e32 v122, 0xffff, v122
	v_and_b32_e32 v123, 0xffff, v123
	s_delay_alu instid0(VALU_DEP_2) | instskip(NEXT) | instid1(VALU_DEP_2)
	v_lshlrev_b32_e32 v173, 4, v122
	v_lshlrev_b32_e32 v172, 4, v123
	s_clause 0x1
	global_load_b128 v[174:177], v173, s[4:5] offset:384
	global_load_b128 v[178:181], v172, s[4:5] offset:384
	s_wait_loadcnt 0x1
	v_mul_f64_e32 v[122:123], v[118:119], v[176:177]
	s_delay_alu instid0(VALU_DEP_1) | instskip(SKIP_1) | instid1(VALU_DEP_1)
	v_fma_f64 v[122:123], v[116:117], v[174:175], v[122:123]
	v_mul_f64_e32 v[116:117], v[116:117], v[176:177]
	v_fma_f64 v[116:117], v[118:119], v[174:175], -v[116:117]
	s_wait_loadcnt 0x0
	v_mul_f64_e32 v[118:119], v[114:115], v[180:181]
	s_delay_alu instid0(VALU_DEP_1) | instskip(SKIP_1) | instid1(VALU_DEP_1)
	v_fma_f64 v[118:119], v[112:113], v[178:179], v[118:119]
	v_mul_f64_e32 v[112:113], v[112:113], v[180:181]
	v_fma_f64 v[112:113], v[114:115], v[178:179], -v[112:113]
	v_add_nc_u16 v115, v144, 0x1f8
	s_delay_alu instid0(VALU_DEP_1) | instskip(NEXT) | instid1(VALU_DEP_1)
	v_lshrrev_b16 v114, 2, v115
	v_and_b32_e32 v114, 0xffff, v114
	s_delay_alu instid0(VALU_DEP_1) | instskip(NEXT) | instid1(VALU_DEP_1)
	v_mul_u32_u24_e32 v114, 0x4925, v114
	v_lshrrev_b32_e32 v114, 17, v114
	s_delay_alu instid0(VALU_DEP_1) | instskip(NEXT) | instid1(VALU_DEP_1)
	v_mul_lo_u16 v146, v114, 28
	v_sub_nc_u16 v115, v115, v146
	scratch_load_b64 v[146:147], off, off offset:24 ; 8-byte Folded Reload
	v_and_b32_e32 v115, 0xffff, v115
	s_wait_loadcnt 0x0
	s_delay_alu instid0(VALU_DEP_1) | instskip(NEXT) | instid1(VALU_DEP_1)
	v_dual_mov_b32 v148, v146 :: v_dual_lshlrev_b32 v115, 4, v115
	v_lshrrev_b16 v146, 2, v148
	s_delay_alu instid0(VALU_DEP_1) | instskip(NEXT) | instid1(VALU_DEP_1)
	v_and_b32_e32 v146, 0xffff, v146
	v_mul_u32_u24_e32 v146, 0x4925, v146
	s_delay_alu instid0(VALU_DEP_1) | instskip(NEXT) | instid1(VALU_DEP_1)
	v_lshrrev_b32_e32 v146, 17, v146
	v_mul_lo_u16 v147, v146, 28
	s_delay_alu instid0(VALU_DEP_1) | instskip(NEXT) | instid1(VALU_DEP_1)
	v_sub_nc_u16 v147, v148, v147
	v_and_b32_e32 v147, 0xffff, v147
	s_delay_alu instid0(VALU_DEP_1)
	v_lshlrev_b32_e32 v147, 4, v147
	s_clause 0x1
	global_load_b128 v[174:177], v147, s[4:5] offset:384
	global_load_b128 v[178:181], v115, s[4:5] offset:384
	s_wait_loadcnt 0x1
	v_mul_f64_e32 v[182:183], v[110:111], v[176:177]
	s_delay_alu instid0(VALU_DEP_1) | instskip(SKIP_1) | instid1(VALU_DEP_1)
	v_fma_f64 v[182:183], v[108:109], v[174:175], v[182:183]
	v_mul_f64_e32 v[108:109], v[108:109], v[176:177]
	v_fma_f64 v[174:175], v[110:111], v[174:175], -v[108:109]
	s_wait_loadcnt 0x0
	v_mul_f64_e32 v[108:109], v[106:107], v[180:181]
	s_delay_alu instid0(VALU_DEP_1) | instskip(SKIP_1) | instid1(VALU_DEP_1)
	v_fma_f64 v[176:177], v[104:105], v[178:179], v[108:109]
	v_mul_f64_e32 v[104:105], v[104:105], v[180:181]
	v_fma_f64 v[178:179], v[106:107], v[178:179], -v[104:105]
	v_add_nc_u16 v104, v144, 0x230
	s_delay_alu instid0(VALU_DEP_1) | instskip(NEXT) | instid1(VALU_DEP_1)
	v_lshrrev_b16 v105, 2, v104
	v_and_b32_e32 v105, 0xffff, v105
	s_delay_alu instid0(VALU_DEP_1) | instskip(NEXT) | instid1(VALU_DEP_1)
	v_mul_u32_u24_e32 v105, 0x4925, v105
	v_lshrrev_b32_e32 v148, 17, v105
	s_delay_alu instid0(VALU_DEP_1) | instskip(NEXT) | instid1(VALU_DEP_1)
	v_mul_lo_u16 v105, v148, 28
	v_sub_nc_u16 v104, v104, v105
	v_add_nc_u16 v105, v144, 0x268
	s_delay_alu instid0(VALU_DEP_2) | instskip(NEXT) | instid1(VALU_DEP_2)
	v_and_b32_e32 v104, 0xffff, v104
	v_lshrrev_b16 v106, 2, v105
	s_delay_alu instid0(VALU_DEP_2) | instskip(NEXT) | instid1(VALU_DEP_2)
	v_lshlrev_b32_e32 v152, 4, v104
	v_and_b32_e32 v106, 0xffff, v106
	s_delay_alu instid0(VALU_DEP_1) | instskip(NEXT) | instid1(VALU_DEP_1)
	v_mul_u32_u24_e32 v106, 0x4925, v106
	v_lshrrev_b32_e32 v151, 17, v106
	s_delay_alu instid0(VALU_DEP_1) | instskip(NEXT) | instid1(VALU_DEP_1)
	v_mul_lo_u16 v106, v151, 28
	v_sub_nc_u16 v105, v105, v106
	s_delay_alu instid0(VALU_DEP_1) | instskip(NEXT) | instid1(VALU_DEP_1)
	v_and_b32_e32 v105, 0xffff, v105
	v_lshlrev_b32_e32 v153, 4, v105
	s_clause 0x1
	global_load_b128 v[104:107], v152, s[4:5] offset:384
	global_load_b128 v[108:111], v153, s[4:5] offset:384
	s_wait_loadcnt 0x1
	v_mul_f64_e32 v[180:181], v[102:103], v[106:107]
	s_delay_alu instid0(VALU_DEP_1) | instskip(SKIP_1) | instid1(VALU_DEP_1)
	v_fma_f64 v[180:181], v[100:101], v[104:105], v[180:181]
	v_mul_f64_e32 v[100:101], v[100:101], v[106:107]
	v_fma_f64 v[104:105], v[102:103], v[104:105], -v[100:101]
	s_wait_loadcnt 0x0
	v_mul_f64_e32 v[100:101], v[98:99], v[110:111]
	s_delay_alu instid0(VALU_DEP_1) | instskip(SKIP_1) | instid1(VALU_DEP_1)
	v_fma_f64 v[106:107], v[96:97], v[108:109], v[100:101]
	v_mul_f64_e32 v[96:97], v[96:97], v[110:111]
	v_fma_f64 v[108:109], v[98:99], v[108:109], -v[96:97]
	v_add_nc_u16 v96, v144, 0x2a0
	s_delay_alu instid0(VALU_DEP_1) | instskip(NEXT) | instid1(VALU_DEP_1)
	v_lshrrev_b16 v97, 2, v96
	v_and_b32_e32 v97, 0xffff, v97
	s_delay_alu instid0(VALU_DEP_1) | instskip(NEXT) | instid1(VALU_DEP_1)
	v_mul_u32_u24_e32 v97, 0x4925, v97
	v_lshrrev_b32_e32 v154, 17, v97
	s_delay_alu instid0(VALU_DEP_1) | instskip(NEXT) | instid1(VALU_DEP_1)
	v_mul_lo_u16 v97, v154, 28
	v_sub_nc_u16 v96, v96, v97
	v_add_nc_u16 v97, v144, 0x2d8
	s_delay_alu instid0(VALU_DEP_2) | instskip(NEXT) | instid1(VALU_DEP_2)
	v_and_b32_e32 v96, 0xffff, v96
	v_lshrrev_b16 v98, 2, v97
	s_delay_alu instid0(VALU_DEP_2) | instskip(NEXT) | instid1(VALU_DEP_2)
	v_lshlrev_b32_e32 v156, 4, v96
	v_and_b32_e32 v98, 0xffff, v98
	s_delay_alu instid0(VALU_DEP_1) | instskip(NEXT) | instid1(VALU_DEP_1)
	v_mul_u32_u24_e32 v98, 0x4925, v98
	v_lshrrev_b32_e32 v155, 17, v98
	s_delay_alu instid0(VALU_DEP_1) | instskip(NEXT) | instid1(VALU_DEP_1)
	v_mul_lo_u16 v98, v155, 28
	v_sub_nc_u16 v97, v97, v98
	s_delay_alu instid0(VALU_DEP_1) | instskip(NEXT) | instid1(VALU_DEP_1)
	v_and_b32_e32 v97, 0xffff, v97
	;; [unrolled: 41-line block ×3, first 2 shown]
	v_lshlrev_b32_e32 v188, 4, v89
	s_clause 0x1
	global_load_b128 v[88:91], v187, s[4:5] offset:384
	global_load_b128 v[92:95], v188, s[4:5] offset:384
	s_wait_loadcnt 0x1
	v_mul_f64_e32 v[102:103], v[82:83], v[90:91]
	s_delay_alu instid0(VALU_DEP_1) | instskip(SKIP_1) | instid1(VALU_DEP_1)
	v_fma_f64 v[102:103], v[80:81], v[88:89], v[102:103]
	v_mul_f64_e32 v[80:81], v[80:81], v[90:91]
	v_fma_f64 v[88:89], v[82:83], v[88:89], -v[80:81]
	s_wait_loadcnt_dscnt 0x1
	v_mul_f64_e32 v[80:81], v[86:87], v[94:95]
	s_delay_alu instid0(VALU_DEP_1) | instskip(SKIP_1) | instid1(VALU_DEP_1)
	v_fma_f64 v[90:91], v[84:85], v[92:93], v[80:81]
	v_mul_f64_e32 v[80:81], v[84:85], v[94:95]
	v_fma_f64 v[84:85], v[86:87], v[92:93], -v[80:81]
	v_or_b32_e32 v80, 0x380, v144
	s_delay_alu instid0(VALU_DEP_1) | instskip(NEXT) | instid1(VALU_DEP_1)
	v_lshrrev_b16 v81, 2, v80
	v_and_b32_e32 v81, 0xffff, v81
	s_delay_alu instid0(VALU_DEP_1) | instskip(NEXT) | instid1(VALU_DEP_1)
	v_mul_u32_u24_e32 v81, 0x4925, v81
	v_lshrrev_b32_e32 v92, 17, v81
	s_delay_alu instid0(VALU_DEP_1) | instskip(NEXT) | instid1(VALU_DEP_1)
	v_mul_lo_u16 v81, v92, 28
	v_sub_nc_u16 v80, v80, v81
	s_delay_alu instid0(VALU_DEP_1) | instskip(NEXT) | instid1(VALU_DEP_1)
	v_and_b32_e32 v80, 0xffff, v80
	v_lshlrev_b32_e32 v93, 4, v80
	global_load_b128 v[80:83], v93, s[4:5] offset:384
	global_wb scope:SCOPE_SE
	s_wait_loadcnt_dscnt 0x0
	s_barrier_signal -1
	s_barrier_wait -1
	global_inv scope:SCOPE_SE
	v_mul_f64_e32 v[86:87], v[78:79], v[82:83]
	s_delay_alu instid0(VALU_DEP_1)
	v_fma_f64 v[86:87], v[76:77], v[80:81], v[86:87]
	v_mul_f64_e32 v[76:77], v[76:77], v[82:83]
	s_wait_alu 0xf1ff
	v_cndmask_b32_e64 v82, 0, 0x380, s1
	v_lshlrev_b32_e32 v83, 4, v157
	v_lshlrev_b32_e32 v157, 2, v189
	s_delay_alu instid0(VALU_DEP_2) | instskip(SKIP_3) | instid1(VALU_DEP_2)
	v_add3_u32 v82, 0, v82, v83
	v_fma_f64 v[80:81], v[78:79], v[80:81], -v[76:77]
	v_add_f64_e64 v[76:77], v[72:73], -v[159:160]
	v_add_f64_e64 v[78:79], v[74:75], -v[142:143]
	v_fma_f64 v[72:73], v[72:73], 2.0, -v[76:77]
	s_delay_alu instid0(VALU_DEP_2)
	v_fma_f64 v[74:75], v[74:75], 2.0, -v[78:79]
	ds_store_b128 v82, v[76:79] offset:448
	ds_store_b128 v82, v[72:75]
	v_add_f64_e64 v[72:73], v[68:69], -v[140:141]
	v_add_f64_e64 v[74:75], v[70:71], -v[136:137]
	v_and_b32_e32 v76, 0xffff, v150
	s_delay_alu instid0(VALU_DEP_1) | instskip(NEXT) | instid1(VALU_DEP_1)
	v_mul_u32_u24_e32 v76, 0x380, v76
	v_add3_u32 v76, 0, v76, v161
	v_fma_f64 v[68:69], v[68:69], 2.0, -v[72:73]
	v_fma_f64 v[70:71], v[70:71], 2.0, -v[74:75]
	ds_store_b128 v76, v[72:75] offset:448
	ds_store_b128 v76, v[68:71]
	v_add_f64_e64 v[68:69], v[64:65], -v[138:139]
	v_add_f64_e64 v[70:71], v[66:67], -v[134:135]
	v_and_b32_e32 v72, 0xffff, v164
	s_delay_alu instid0(VALU_DEP_1) | instskip(NEXT) | instid1(VALU_DEP_1)
	v_mul_u32_u24_e32 v72, 0x380, v72
	v_add3_u32 v72, 0, v72, v165
	v_fma_f64 v[64:65], v[64:65], 2.0, -v[68:69]
	v_fma_f64 v[66:67], v[66:67], 2.0, -v[70:71]
	ds_store_b128 v72, v[64:67]
	ds_store_b128 v72, v[68:71] offset:448
	v_add_f64_e64 v[64:65], v[60:61], -v[132:133]
	v_add_f64_e64 v[66:67], v[62:63], -v[128:129]
	v_and_b32_e32 v68, 0xffff, v162
	s_delay_alu instid0(VALU_DEP_1) | instskip(NEXT) | instid1(VALU_DEP_1)
	v_mul_u32_u24_e32 v68, 0x380, v68
	v_add3_u32 v68, 0, v68, v163
	v_fma_f64 v[60:61], v[60:61], 2.0, -v[64:65]
	v_fma_f64 v[62:63], v[62:63], 2.0, -v[66:67]
	ds_store_b128 v68, v[60:63]
	ds_store_b128 v68, v[64:67] offset:448
	v_add_f64_e64 v[60:61], v[56:57], -v[130:131]
	v_add_f64_e64 v[62:63], v[58:59], -v[126:127]
	v_mul_u32_u24_e32 v64, 0x380, v167
	s_delay_alu instid0(VALU_DEP_1) | instskip(NEXT) | instid1(VALU_DEP_4)
	v_add3_u32 v64, 0, v64, v169
	v_fma_f64 v[56:57], v[56:57], 2.0, -v[60:61]
	s_delay_alu instid0(VALU_DEP_4)
	v_fma_f64 v[58:59], v[58:59], 2.0, -v[62:63]
	ds_store_b128 v64, v[56:59]
	ds_store_b128 v64, v[60:63] offset:448
	v_add_f64_e64 v[56:57], v[48:49], -v[124:125]
	v_add_f64_e64 v[58:59], v[50:51], -v[120:121]
	v_mul_u32_u24_e32 v60, 0x380, v166
	s_delay_alu instid0(VALU_DEP_1) | instskip(NEXT) | instid1(VALU_DEP_4)
	v_add3_u32 v60, 0, v60, v168
	v_fma_f64 v[48:49], v[48:49], 2.0, -v[56:57]
	s_delay_alu instid0(VALU_DEP_4)
	;; [unrolled: 10-line block ×6, first 2 shown]
	v_fma_f64 v[38:39], v[38:39], 2.0, -v[42:43]
	ds_store_b128 v44, v[40:43] offset:448
	ds_store_b128 v44, v[36:39]
	v_add_f64_e64 v[36:37], v[32:33], -v[180:181]
	v_add_f64_e64 v[38:39], v[34:35], -v[104:105]
	v_mul_u32_u24_e32 v40, 0x380, v148
	s_delay_alu instid0(VALU_DEP_1) | instskip(NEXT) | instid1(VALU_DEP_4)
	v_add3_u32 v40, 0, v40, v152
	v_fma_f64 v[32:33], v[32:33], 2.0, -v[36:37]
	s_delay_alu instid0(VALU_DEP_4)
	v_fma_f64 v[34:35], v[34:35], 2.0, -v[38:39]
	ds_store_b128 v40, v[32:35]
	ds_store_b128 v40, v[36:39] offset:448
	v_add_f64_e64 v[32:33], v[28:29], -v[106:107]
	v_add_f64_e64 v[34:35], v[30:31], -v[108:109]
	v_mul_u32_u24_e32 v36, 0x380, v151
	s_delay_alu instid0(VALU_DEP_1) | instskip(NEXT) | instid1(VALU_DEP_4)
	v_add3_u32 v36, 0, v36, v153
	v_fma_f64 v[28:29], v[28:29], 2.0, -v[32:33]
	s_delay_alu instid0(VALU_DEP_4)
	v_fma_f64 v[30:31], v[30:31], 2.0, -v[34:35]
	ds_store_b128 v36, v[28:31]
	ds_store_b128 v36, v[32:35] offset:448
	v_add_f64_e64 v[28:29], v[24:25], -v[110:111]
	v_add_f64_e64 v[30:31], v[26:27], -v[96:97]
	v_mul_u32_u24_e32 v32, 0x380, v154
	v_lshlrev_b32_e32 v97, 2, v193
	v_lshlrev_b32_e32 v96, 2, v191
	s_delay_alu instid0(VALU_DEP_3)
	v_add3_u32 v32, 0, v32, v156
	v_fma_f64 v[24:25], v[24:25], 2.0, -v[28:29]
	v_fma_f64 v[26:27], v[26:27], 2.0, -v[30:31]
	ds_store_b128 v32, v[24:27]
	ds_store_b128 v32, v[28:31] offset:448
	v_add_f64_e64 v[24:25], v[20:21], -v[98:99]
	v_add_f64_e64 v[26:27], v[22:23], -v[100:101]
	v_mul_u32_u24_e32 v28, 0x380, v155
	v_add_f64_e64 v[30:31], v[10:11], -v[80:81]
	v_lshlrev_b32_e32 v101, 2, v144
	v_lshlrev_b32_e32 v100, 2, v149
	;; [unrolled: 1-line block ×3, first 2 shown]
	v_add3_u32 v28, 0, v28, v184
	v_lshlrev_b32_e32 v98, 2, v194
	v_fma_f64 v[20:21], v[20:21], 2.0, -v[24:25]
	v_fma_f64 v[22:23], v[22:23], 2.0, -v[26:27]
	ds_store_b128 v28, v[20:23]
	ds_store_b128 v28, v[24:27] offset:448
	v_add_f64_e64 v[20:21], v[16:17], -v[102:103]
	v_add_f64_e64 v[22:23], v[18:19], -v[88:89]
	;; [unrolled: 1-line block ×5, first 2 shown]
	v_fma_f64 v[34:35], v[10:11], 2.0, -v[30:31]
	v_mul_u32_u24_e32 v10, 0x380, v92
	v_fma_f64 v[16:17], v[16:17], 2.0, -v[20:21]
	v_fma_f64 v[18:19], v[18:19], 2.0, -v[22:23]
	;; [unrolled: 1-line block ×5, first 2 shown]
	v_mul_u32_u24_e32 v8, 0x380, v185
	v_mul_u32_u24_e32 v9, 0x380, v186
	s_delay_alu instid0(VALU_DEP_2) | instskip(NEXT) | instid1(VALU_DEP_2)
	v_add3_u32 v8, 0, v8, v187
	v_add3_u32 v9, 0, v9, v188
	ds_store_b128 v8, v[20:23] offset:448
	ds_store_b128 v8, v[16:19]
	v_mul_i32_i24_e32 v8, 0xffffffd0, v191
	ds_store_b128 v9, v[12:15]
	ds_store_b128 v9, v[24:27] offset:448
	v_add3_u32 v9, 0, v10, v93
	ds_store_b128 v9, v[32:35]
	ds_store_b128 v9, v[28:31] offset:448
	s_and_saveexec_b32 s1, s0
	s_cbranch_execz .LBB0_19
; %bb.18:
	v_add_nc_u16 v9, v144, 0x3b8
	s_delay_alu instid0(VALU_DEP_1) | instskip(NEXT) | instid1(VALU_DEP_1)
	v_lshrrev_b16 v10, 2, v9
	v_and_b32_e32 v10, 0xffff, v10
	s_delay_alu instid0(VALU_DEP_1) | instskip(NEXT) | instid1(VALU_DEP_1)
	v_mul_u32_u24_e32 v10, 0x4925, v10
	v_lshrrev_b32_e32 v10, 17, v10
	s_delay_alu instid0(VALU_DEP_1) | instskip(NEXT) | instid1(VALU_DEP_1)
	v_mul_lo_u16 v10, v10, 28
	v_sub_nc_u16 v9, v9, v10
	s_delay_alu instid0(VALU_DEP_1) | instskip(NEXT) | instid1(VALU_DEP_1)
	v_and_b32_e32 v9, 0xffff, v9
	v_lshlrev_b32_e32 v15, 4, v9
	global_load_b128 v[9:12], v15, s[4:5] offset:384
	s_wait_loadcnt 0x0
	v_mul_f64_e32 v[13:14], v[0:1], v[11:12]
	v_mul_f64_e32 v[11:12], v[2:3], v[11:12]
	s_delay_alu instid0(VALU_DEP_2) | instskip(NEXT) | instid1(VALU_DEP_2)
	v_fma_f64 v[2:3], v[2:3], v[9:10], -v[13:14]
	v_fma_f64 v[0:1], v[0:1], v[9:10], v[11:12]
	v_add_nc_u32_e32 v9, 0, v15
	s_delay_alu instid0(VALU_DEP_3) | instskip(NEXT) | instid1(VALU_DEP_3)
	v_add_f64_e64 v[2:3], v[6:7], -v[2:3]
	v_add_f64_e64 v[0:1], v[4:5], -v[0:1]
	s_delay_alu instid0(VALU_DEP_2) | instskip(NEXT) | instid1(VALU_DEP_2)
	v_fma_f64 v[6:7], v[6:7], 2.0, -v[2:3]
	v_fma_f64 v[4:5], v[4:5], 2.0, -v[0:1]
	ds_store_b128 v9, v[4:7] offset:30464
	ds_store_b128 v9, v[0:3] offset:30912
.LBB0_19:
	s_wait_alu 0xfffe
	s_or_b32 exec_lo, exec_lo, s1
	v_mul_u32_u24_e32 v0, 6, v144
	v_lshrrev_b16 v5, 3, v195
	global_wb scope:SCOPE_SE
	s_wait_dscnt 0x0
	s_barrier_signal -1
	s_barrier_wait -1
	v_lshlrev_b32_e32 v4, 4, v0
	v_dual_mov_b32 v6, v195 :: v_dual_and_b32 v5, 31, v5
	global_inv scope:SCOPE_SE
	s_mov_b32 s16, 0x37e14327
	s_clause 0x1
	global_load_b128 v[0:3], v4, s[4:5] offset:832
	global_load_b128 v[9:12], v4, s[4:5] offset:848
	v_mul_lo_u16 v5, v5, 37
	s_clause 0x1
	global_load_b128 v[13:16], v4, s[4:5] offset:864
	global_load_b128 v[68:71], v4, s[4:5] offset:880
	scratch_store_b64 off, v[6:7], off offset:68 ; 8-byte Folded Spill
	s_clause 0x1
	global_load_b128 v[72:75], v4, s[4:5] offset:896
	global_load_b128 v[76:79], v4, s[4:5] offset:912
	v_lshrrev_b16 v5, 8, v5
	s_mov_b32 s10, 0x36b3c0b5
	s_mov_b32 s17, 0x3fe948f6
	;; [unrolled: 1-line block ×4, first 2 shown]
	v_mul_lo_u16 v5, v5, 56
	s_mov_b32 s24, s12
	s_mov_b32 s2, 0xaaaaaaaa
	;; [unrolled: 1-line block ×4, first 2 shown]
	v_sub_nc_u16 v5, v195, v5
	s_mov_b32 s23, 0xbfd5d0dc
	v_mov_b32_e32 v6, v194
	s_mov_b32 s21, 0x3fd5d0dc
	s_wait_alu 0xfffe
	s_mov_b32 s20, s22
	v_and_b32_e32 v143, 0xff, v5
	s_mov_b32 s18, 0x37c3f68c
	scratch_store_b64 off, v[6:7], off offset:60 ; 8-byte Folded Spill
	s_mov_b32 s19, 0xbfdc38aa
	v_mov_b32_e32 v102, v158
	v_mul_u32_u24_e32 v5, 6, v143
	v_lshl_add_u32 v143, v143, 4, 0
	s_delay_alu instid0(VALU_DEP_3) | instskip(NEXT) | instid1(VALU_DEP_3)
	v_lshlrev_b64_e32 v[101:102], 4, v[101:102]
	v_lshlrev_b32_e32 v4, 4, v5
	v_lshrrev_b16 v5, 3, v194
	s_clause 0x1
	global_load_b128 v[80:83], v4, s[4:5] offset:832
	global_load_b128 v[84:87], v4, s[4:5] offset:848
	v_and_b32_e32 v5, 31, v5
	s_clause 0x3
	global_load_b128 v[88:91], v4, s[4:5] offset:864
	global_load_b128 v[179:182], v4, s[4:5] offset:880
	;; [unrolled: 1-line block ×4, first 2 shown]
	v_mul_lo_u16 v5, v5, 37
	s_delay_alu instid0(VALU_DEP_1) | instskip(NEXT) | instid1(VALU_DEP_1)
	v_lshrrev_b16 v5, 8, v5
	v_mul_lo_u16 v5, v5, 56
	s_delay_alu instid0(VALU_DEP_1) | instskip(NEXT) | instid1(VALU_DEP_1)
	v_sub_nc_u16 v5, v194, v5
	v_and_b32_e32 v150, 0xff, v5
	v_lshrrev_b16 v5, 3, v193
	s_delay_alu instid0(VALU_DEP_2) | instskip(NEXT) | instid1(VALU_DEP_2)
	v_mul_u32_u24_e32 v6, 6, v150
	v_and_b32_e32 v5, 0xffff, v5
	s_delay_alu instid0(VALU_DEP_2) | instskip(NEXT) | instid1(VALU_DEP_2)
	v_lshlrev_b32_e32 v4, 4, v6
	v_mul_u32_u24_e32 v5, 0x2493, v5
	v_mov_b32_e32 v6, v193
	s_clause 0x2
	global_load_b128 v[195:198], v4, s[4:5] offset:832
	global_load_b128 v[205:208], v4, s[4:5] offset:848
	global_load_b128 v[215:218], v4, s[4:5] offset:864
	v_lshrrev_b32_e32 v5, 16, v5
	scratch_store_b64 off, v[6:7], off offset:52 ; 8-byte Folded Spill
	s_clause 0x1
	global_load_b128 v[44:47], v4, s[4:5] offset:880
	global_load_b128 v[24:27], v4, s[4:5] offset:896
	v_mul_lo_u16 v5, v5, 56
	s_delay_alu instid0(VALU_DEP_1) | instskip(NEXT) | instid1(VALU_DEP_1)
	v_sub_nc_u16 v5, v193, v5
	v_and_b32_e32 v219, 0xffff, v5
	s_delay_alu instid0(VALU_DEP_1) | instskip(NEXT) | instid1(VALU_DEP_1)
	v_mul_u32_u24_e32 v5, 6, v219
	v_lshlrev_b32_e32 v5, 4, v5
	s_clause 0x6
	global_load_b128 v[20:23], v4, s[4:5] offset:912
	global_load_b128 v[40:43], v5, s[4:5] offset:832
	;; [unrolled: 1-line block ×7, first 2 shown]
	v_add_nc_u32_e32 v4, v145, v8
	s_delay_alu instid0(VALU_DEP_1)
	v_mov_b32_e32 v156, v4
	ds_load_b128 v[64:67], v4
	scratch_store_b32 off, v156, off offset:88 ; 4-byte Folded Spill
	ds_load_b128 v[103:106], v247 offset:5376
	ds_load_b128 v[107:110], v247 offset:8960
	;; [unrolled: 1-line block ×5, first 2 shown]
	ds_load_b128 v[4:7], v247
	ds_load_b128 v[131:134], v247 offset:17920
	ds_load_b128 v[56:59], v247 offset:8064
	;; [unrolled: 1-line block ×16, first 2 shown]
	s_wait_loadcnt_dscnt 0x1716
	v_mul_f64_e32 v[17:18], v[66:67], v[2:3]
	v_mul_f64_e32 v[113:114], v[64:65], v[2:3]
	s_wait_dscnt 0x15
	v_mul_f64_e32 v[119:120], v[105:106], v[2:3]
	v_mul_f64_e32 v[2:3], v[103:104], v[2:3]
	s_wait_loadcnt_dscnt 0x1614
	v_mul_f64_e32 v[121:122], v[109:110], v[11:12]
	v_mul_f64_e32 v[171:172], v[107:108], v[11:12]
	s_wait_dscnt 0x13
	v_mul_f64_e32 v[173:174], v[117:118], v[11:12]
	s_wait_loadcnt_dscnt 0x1512
	v_mul_f64_e32 v[177:178], v[123:124], v[15:16]
	s_wait_dscnt 0x11
	v_mul_f64_e32 v[203:204], v[129:130], v[15:16]
	v_mul_f64_e32 v[11:12], v[115:116], v[11:12]
	;; [unrolled: 1-line block ×4, first 2 shown]
	s_wait_loadcnt_dscnt 0x140f
	v_mul_f64_e32 v[236:237], v[131:132], v[70:71]
	s_wait_dscnt 0xd
	v_mul_f64_e32 v[238:239], v[137:138], v[70:71]
	v_mul_f64_e32 v[213:214], v[133:134], v[70:71]
	;; [unrolled: 1-line block ×3, first 2 shown]
	s_wait_loadcnt_dscnt 0x130b
	v_mul_f64_e32 v[240:241], v[141:142], v[74:75]
	v_mul_f64_e32 v[242:243], v[139:140], v[74:75]
	s_wait_dscnt 0xa
	v_mul_f64_e32 v[244:245], v[165:166], v[74:75]
	v_mul_f64_e32 v[74:75], v[163:164], v[74:75]
	s_wait_loadcnt_dscnt 0x1102
	v_mul_f64_e32 v[145:146], v[226:227], v[82:83]
	v_fma_f64 v[111:112], v[64:65], v[0:1], v[17:18]
	v_fma_f64 v[113:114], v[66:67], v[0:1], -v[113:114]
	v_fma_f64 v[103:104], v[103:104], v[0:1], v[119:120]
	v_fma_f64 v[105:106], v[105:106], v[0:1], -v[2:3]
	v_mul_f64_e32 v[0:1], v[169:170], v[78:79]
	v_mul_f64_e32 v[82:83], v[224:225], v[82:83]
	;; [unrolled: 1-line block ×3, first 2 shown]
	v_fma_f64 v[119:120], v[107:108], v[9:10], v[121:122]
	v_fma_f64 v[121:122], v[109:110], v[9:10], -v[171:172]
	v_mul_f64_e32 v[171:172], v[201:202], v[78:79]
	v_mul_f64_e32 v[78:79], v[199:200], v[78:79]
	v_fma_f64 v[107:108], v[115:116], v[9:10], v[173:174]
	v_fma_f64 v[125:126], v[125:126], v[13:14], -v[177:178]
	s_wait_loadcnt 0x10
	v_mul_f64_e32 v[177:178], v[161:162], v[86:87]
	v_mul_f64_e32 v[86:87], v[159:160], v[86:87]
	v_fma_f64 v[115:116], v[127:128], v[13:14], v[203:204]
	s_wait_loadcnt 0xf
	v_mul_f64_e32 v[203:204], v[189:190], v[90:91]
	v_mul_f64_e32 v[90:91], v[187:188], v[90:91]
	ds_load_b128 v[64:67], v247 offset:25984
	v_fma_f64 v[109:110], v[117:118], v[9:10], -v[11:12]
	v_fma_f64 v[117:118], v[129:130], v[13:14], -v[15:16]
	;; [unrolled: 1-line block ×3, first 2 shown]
	v_fma_f64 v[127:128], v[135:136], v[68:69], v[238:239]
	ds_load_b128 v[16:19], v250
	ds_load_b128 v[8:11], v249
	ds_load_b128 v[236:239], v247 offset:11648
	v_fma_f64 v[131:132], v[131:132], v[68:69], v[213:214]
	s_wait_loadcnt 0xe
	v_mul_f64_e32 v[213:214], v[193:194], v[181:182]
	v_mul_f64_e32 v[181:182], v[191:192], v[181:182]
	v_fma_f64 v[129:130], v[137:138], v[68:69], -v[70:71]
	v_fma_f64 v[135:136], v[139:140], v[72:73], v[240:241]
	v_fma_f64 v[137:138], v[141:142], v[72:73], -v[242:243]
	v_fma_f64 v[139:140], v[163:164], v[72:73], v[244:245]
	v_fma_f64 v[141:142], v[165:166], v[72:73], -v[74:75]
	ds_load_b128 v[72:75], v247 offset:25088
	s_wait_loadcnt 0xd
	v_mul_f64_e32 v[240:241], v[211:212], v[185:186]
	v_mul_f64_e32 v[185:186], v[209:210], v[185:186]
	v_fma_f64 v[123:124], v[123:124], v[13:14], v[175:176]
	v_fma_f64 v[165:166], v[224:225], v[80:81], v[145:146]
	s_wait_loadcnt 0xc
	v_mul_f64_e32 v[242:243], v[222:223], v[94:95]
	v_mul_f64_e32 v[244:245], v[220:221], v[94:95]
	s_wait_loadcnt_dscnt 0xb06
	v_mul_f64_e32 v[145:146], v[230:231], v[197:198]
	v_fma_f64 v[173:174], v[167:168], v[76:77], v[0:1]
	v_fma_f64 v[167:168], v[226:227], v[80:81], -v[82:83]
	v_mul_f64_e32 v[197:198], v[228:229], v[197:198]
	s_wait_loadcnt_dscnt 0xa01
	v_mul_f64_e32 v[224:225], v[238:239], v[207:208]
	v_mul_f64_e32 v[207:208], v[236:237], v[207:208]
	s_wait_loadcnt 0x9
	v_mul_f64_e32 v[226:227], v[234:235], v[217:218]
	v_mul_f64_e32 v[217:218], v[232:233], v[217:218]
	v_fma_f64 v[175:176], v[169:170], v[76:77], -v[2:3]
	v_fma_f64 v[169:170], v[199:200], v[76:77], v[171:172]
	v_fma_f64 v[171:172], v[201:202], v[76:77], -v[78:79]
	ds_load_b128 v[12:15], v248
	ds_load_b128 v[0:3], v246
	ds_load_b128 v[68:71], v247 offset:12544
	v_fma_f64 v[94:95], v[159:160], v[84:85], v[177:178]
	v_fma_f64 v[159:160], v[161:162], v[84:85], -v[86:87]
	v_fma_f64 v[161:162], v[187:188], v[88:89], v[203:204]
	v_fma_f64 v[163:164], v[189:190], v[88:89], -v[90:91]
	ds_load_b128 v[88:91], v247 offset:20608
	ds_load_b128 v[76:79], v247 offset:21504
	;; [unrolled: 1-line block ×4, first 2 shown]
	s_wait_loadcnt_dscnt 0x707
	v_mul_f64_e32 v[201:202], v[74:75], v[26:27]
	v_mul_f64_e32 v[203:204], v[72:73], v[26:27]
	global_wb scope:SCOPE_SE
	s_wait_storecnt 0x0
	s_wait_loadcnt_dscnt 0x0
	s_barrier_signal -1
	v_fma_f64 v[177:178], v[191:192], v[179:180], v[213:214]
	v_fma_f64 v[179:180], v[193:194], v[179:180], -v[181:182]
	s_barrier_wait -1
	global_inv scope:SCOPE_SE
	v_mul_f64_e32 v[191:192], v[58:59], v[42:43]
	v_mul_f64_e32 v[193:194], v[56:57], v[42:43]
	;; [unrolled: 1-line block ×3, first 2 shown]
	v_fma_f64 v[181:182], v[209:210], v[183:184], v[240:241]
	v_fma_f64 v[183:184], v[211:212], v[183:184], -v[185:186]
	v_mul_f64_e32 v[209:210], v[66:67], v[54:55]
	v_mul_f64_e32 v[54:55], v[64:65], v[54:55]
	v_fma_f64 v[185:186], v[220:221], v[92:93], v[242:243]
	v_mul_f64_e32 v[211:212], v[90:91], v[46:47]
	v_mul_f64_e32 v[187:188], v[86:87], v[22:23]
	;; [unrolled: 1-line block ×4, first 2 shown]
	v_fma_f64 v[42:43], v[228:229], v[195:196], v[145:146]
	v_fma_f64 v[46:47], v[230:231], v[195:196], -v[197:198]
	v_mul_f64_e32 v[195:196], v[70:71], v[38:39]
	v_mul_f64_e32 v[38:39], v[68:69], v[38:39]
	;; [unrolled: 1-line block ×3, first 2 shown]
	v_fma_f64 v[22:23], v[236:237], v[205:206], v[224:225]
	v_fma_f64 v[26:27], v[238:239], v[205:206], -v[207:208]
	v_mul_f64_e32 v[205:206], v[78:79], v[30:31]
	v_mul_f64_e32 v[207:208], v[76:77], v[30:31]
	v_fma_f64 v[30:31], v[232:233], v[215:216], v[226:227]
	v_fma_f64 v[34:35], v[234:235], v[215:216], -v[217:218]
	v_mul_f64_e32 v[215:216], v[82:83], v[50:51]
	v_mul_f64_e32 v[50:51], v[80:81], v[50:51]
	v_fma_f64 v[92:93], v[222:223], v[92:93], -v[244:245]
	v_add_co_u32 v217, s1, s4, v101
	v_lshl_add_u32 v101, v219, 4, 0
	v_fma_f64 v[72:73], v[72:73], v[24:25], v[201:202]
	v_fma_f64 v[24:25], v[74:75], v[24:25], -v[203:204]
	s_wait_alu 0xf1ff
	v_add_co_ci_u32_e64 v218, s1, s5, v102, s1
	v_add_f64_e64 v[145:146], v[177:178], -v[161:162]
	v_lshl_add_u32 v102, v150, 4, 0
	v_fma_f64 v[56:57], v[56:57], v[40:41], v[191:192]
	v_fma_f64 v[40:41], v[58:59], v[40:41], -v[193:194]
	v_fma_f64 v[88:89], v[88:89], v[44:45], v[211:212]
	v_fma_f64 v[74:75], v[84:85], v[20:21], v[187:188]
	v_fma_f64 v[20:21], v[86:87], v[20:21], -v[189:190]
	v_fma_f64 v[44:45], v[90:91], v[44:45], -v[213:214]
	v_add_f64_e32 v[84:85], v[125:126], v[133:134]
	v_add_f64_e64 v[86:87], v[131:132], -v[123:124]
	v_fma_f64 v[58:59], v[68:69], v[36:37], v[195:196]
	v_fma_f64 v[36:37], v[70:71], v[36:37], -v[38:39]
	v_fma_f64 v[38:39], v[60:61], v[32:33], v[197:198]
	v_fma_f64 v[32:33], v[62:63], v[32:33], -v[199:200]
	;; [unrolled: 2-line block ×4, first 2 shown]
	v_add_f64_e32 v[64:65], v[113:114], v[175:176]
	v_fma_f64 v[54:55], v[80:81], v[48:49], v[215:216]
	v_fma_f64 v[48:49], v[82:83], v[48:49], -v[50:51]
	v_add_f64_e32 v[50:51], v[111:112], v[173:174]
	v_add_f64_e64 v[66:67], v[111:112], -v[173:174]
	v_add_f64_e64 v[68:69], v[113:114], -v[175:176]
	v_add_f64_e32 v[70:71], v[119:120], v[135:136]
	v_add_f64_e32 v[76:77], v[121:122], v[137:138]
	v_add_f64_e64 v[78:79], v[119:120], -v[135:136]
	v_add_f64_e64 v[80:81], v[121:122], -v[137:138]
	v_add_f64_e32 v[111:112], v[103:104], v[169:170]
	v_add_f64_e32 v[113:114], v[105:106], v[171:172]
	;; [unrolled: 1-line block ×5, first 2 shown]
	v_add_f64_e64 v[90:91], v[133:134], -v[125:126]
	v_add_f64_e32 v[123:124], v[115:116], v[127:128]
	v_add_f64_e32 v[125:126], v[117:118], v[129:130]
	v_add_f64_e64 v[115:116], v[127:128], -v[115:116]
	v_add_f64_e64 v[117:118], v[129:130], -v[117:118]
	v_add_f64_e32 v[127:128], v[165:166], v[185:186]
	v_add_f64_e32 v[129:130], v[167:168], v[92:93]
	v_add_f64_e32 v[133:134], v[94:95], v[181:182]
	v_add_f64_e32 v[135:136], v[159:160], v[183:184]
	v_add_f64_e64 v[107:108], v[107:108], -v[139:140]
	v_add_f64_e64 v[109:110], v[109:110], -v[141:142]
	;; [unrolled: 1-line block ×3, first 2 shown]
	v_add_f64_e32 v[139:140], v[161:162], v[177:178]
	v_add_f64_e32 v[141:142], v[163:164], v[179:180]
	v_add_f64_e64 v[159:160], v[179:180], -v[163:164]
	v_add_f64_e32 v[161:162], v[42:43], v[74:75]
	v_add_f64_e32 v[163:164], v[46:47], v[20:21]
	v_add_f64_e64 v[42:43], v[42:43], -v[74:75]
	v_add_f64_e64 v[20:21], v[46:47], -v[20:21]
	v_add_f64_e32 v[46:47], v[22:23], v[72:73]
	v_add_f64_e32 v[74:75], v[26:27], v[24:25]
	v_add_f64_e64 v[22:23], v[22:23], -v[72:73]
	;; [unrolled: 4-line block ×5, first 2 shown]
	v_add_f64_e64 v[36:37], v[36:37], -v[52:53]
	v_add_f64_e32 v[177:178], v[119:120], v[111:112]
	v_add_f64_e32 v[179:180], v[121:122], v[113:114]
	;; [unrolled: 1-line block ×4, first 2 shown]
	v_add_f64_e64 v[38:39], v[60:61], -v[38:39]
	v_add_f64_e64 v[28:29], v[28:29], -v[32:33]
	v_add_f64_e32 v[32:33], v[70:71], v[50:51]
	v_add_f64_e32 v[60:61], v[76:77], v[64:65]
	v_add_f64_e64 v[103:104], v[103:104], -v[169:170]
	v_add_f64_e64 v[105:106], v[105:106], -v[171:172]
	;; [unrolled: 1-line block ×3, first 2 shown]
	v_add_f64_e32 v[193:194], v[133:134], v[127:128]
	v_add_f64_e32 v[195:196], v[135:136], v[129:130]
	v_add_f64_e64 v[131:132], v[165:166], -v[185:186]
	v_add_f64_e64 v[92:93], v[167:168], -v[92:93]
	v_add_f64_e64 v[165:166], v[70:71], -v[50:51]
	v_add_f64_e64 v[167:168], v[76:77], -v[64:65]
	v_add_f64_e64 v[50:51], v[50:51], -v[82:83]
	v_add_f64_e64 v[64:65], v[64:65], -v[84:85]
	v_add_f64_e64 v[70:71], v[82:83], -v[70:71]
	v_add_f64_e64 v[76:77], v[84:85], -v[76:77]
	v_add_f64_e32 v[169:170], v[86:87], v[78:79]
	v_add_f64_e32 v[209:210], v[46:47], v[161:162]
	;; [unrolled: 1-line block ×4, first 2 shown]
	v_add_f64_e64 v[173:174], v[86:87], -v[78:79]
	v_add_f64_e64 v[175:176], v[90:91], -v[80:81]
	;; [unrolled: 1-line block ×9, first 2 shown]
	v_add_f64_e32 v[227:228], v[48:49], v[44:45]
	v_add_f64_e32 v[229:230], v[56:57], v[88:89]
	v_add_f64_e64 v[121:122], v[125:126], -v[121:122]
	v_add_f64_e32 v[185:186], v[115:116], v[107:108]
	v_add_f64_e32 v[187:188], v[117:118], v[109:110]
	v_add_f64_e64 v[189:190], v[115:116], -v[107:108]
	v_add_f64_e64 v[191:192], v[117:118], -v[109:110]
	v_add_f64_e32 v[123:124], v[123:124], v[177:178]
	v_add_f64_e32 v[125:126], v[125:126], v[179:180]
	v_add_f64_e64 v[197:198], v[133:134], -v[127:128]
	v_add_f64_e32 v[32:33], v[82:83], v[32:33]
	v_add_f64_e64 v[82:83], v[38:39], -v[58:59]
	;; [unrolled: 2-line block ×3, first 2 shown]
	v_add_f64_e64 v[109:110], v[109:110], -v[105:106]
	v_add_f64_e64 v[199:200], v[135:136], -v[129:130]
	;; [unrolled: 1-line block ×8, first 2 shown]
	v_add_f64_e32 v[139:140], v[139:140], v[193:194]
	v_add_f64_e32 v[141:142], v[141:142], v[195:196]
	;; [unrolled: 1-line block ×4, first 2 shown]
	v_add_f64_e64 v[94:95], v[94:95], -v[131:132]
	v_add_f64_e64 v[137:138], v[137:138], -v[92:93]
	;; [unrolled: 1-line block ×10, first 2 shown]
	v_add_f64_e32 v[26:27], v[26:27], v[209:210]
	v_add_f64_e32 v[72:73], v[72:73], v[211:212]
	;; [unrolled: 1-line block ×4, first 2 shown]
	v_add_f64_e64 v[22:23], v[22:23], -v[42:43]
	v_add_f64_e64 v[24:25], v[24:25], -v[20:21]
	;; [unrolled: 1-line block ×9, first 2 shown]
	v_add_f64_e32 v[52:53], v[52:53], v[227:228]
	v_add_f64_e32 v[62:63], v[62:63], v[229:230]
	v_add_f64_e64 v[86:87], v[66:67], -v[86:87]
	v_add_f64_e64 v[90:91], v[68:69], -v[90:91]
	v_add_f64_e32 v[235:236], v[38:39], v[58:59]
	v_add_f64_e32 v[237:238], v[28:29], v[36:37]
	v_add_f64_e64 v[58:59], v[58:59], -v[54:55]
	v_add_f64_e64 v[36:37], v[36:37], -v[40:41]
	v_add_f64_e32 v[66:67], v[169:170], v[66:67]
	v_add_f64_e32 v[68:69], v[171:172], v[68:69]
	v_mul_f64_e32 v[50:51], s[16:17], v[50:51]
	v_mul_f64_e32 v[64:65], s[16:17], v[64:65]
	;; [unrolled: 1-line block ×4, first 2 shown]
	v_add_f64_e64 v[115:116], v[103:104], -v[115:116]
	v_add_f64_e64 v[117:118], v[105:106], -v[117:118]
	v_mul_f64_e32 v[173:174], s[14:15], v[173:174]
	v_mul_f64_e32 v[175:176], s[14:15], v[175:176]
	;; [unrolled: 1-line block ×4, first 2 shown]
	v_add_f64_e32 v[103:104], v[185:186], v[103:104]
	v_add_f64_e32 v[105:106], v[187:188], v[105:106]
	v_mul_f64_e32 v[111:112], s[16:17], v[111:112]
	v_mul_f64_e32 v[113:114], s[16:17], v[113:114]
	;; [unrolled: 1-line block ×6, first 2 shown]
	v_add_f64_e32 v[16:17], v[16:17], v[123:124]
	v_add_f64_e32 v[18:19], v[18:19], v[125:126]
	;; [unrolled: 1-line block ×4, first 2 shown]
	v_mul_f64_e32 v[82:83], s[14:15], v[82:83]
	v_mul_f64_e32 v[193:194], s[6:7], v[107:108]
	;; [unrolled: 1-line block ×3, first 2 shown]
	v_add_f64_e64 v[145:146], v[131:132], -v[145:146]
	v_add_f64_e64 v[159:160], v[92:93], -v[159:160]
	v_mul_f64_e32 v[127:128], s[16:17], v[127:128]
	v_mul_f64_e32 v[129:130], s[16:17], v[129:130]
	;; [unrolled: 1-line block ×4, first 2 shown]
	v_add_f64_e32 v[8:9], v[8:9], v[139:140]
	v_add_f64_e32 v[10:11], v[10:11], v[141:142]
	v_mul_f64_e32 v[209:210], s[6:7], v[94:95]
	v_mul_f64_e32 v[211:212], s[6:7], v[137:138]
	v_add_f64_e32 v[131:132], v[201:202], v[131:132]
	v_add_f64_e32 v[92:93], v[203:204], v[92:93]
	v_mul_f64_e32 v[201:202], s[10:11], v[133:134]
	v_mul_f64_e32 v[203:204], s[10:11], v[135:136]
	v_add_f64_e64 v[30:31], v[42:43], -v[30:31]
	v_add_f64_e64 v[34:35], v[20:21], -v[34:35]
	v_mul_f64_e32 v[161:162], s[16:17], v[161:162]
	v_mul_f64_e32 v[163:164], s[16:17], v[163:164]
	;; [unrolled: 1-line block ×4, first 2 shown]
	v_add_f64_e32 v[12:13], v[12:13], v[26:27]
	v_add_f64_e32 v[14:15], v[14:15], v[72:73]
	v_mul_f64_e32 v[227:228], s[6:7], v[22:23]
	v_mul_f64_e32 v[229:230], s[6:7], v[24:25]
	v_add_f64_e32 v[42:43], v[219:220], v[42:43]
	v_add_f64_e32 v[20:21], v[221:222], v[20:21]
	v_mul_f64_e32 v[219:220], s[10:11], v[46:47]
	v_mul_f64_e32 v[221:222], s[10:11], v[74:75]
	v_add_f64_e64 v[38:39], v[54:55], -v[38:39]
	v_add_f64_e64 v[28:29], v[40:41], -v[28:29]
	v_mul_f64_e32 v[44:45], s[16:17], v[44:45]
	v_mul_f64_e32 v[88:89], s[16:17], v[88:89]
	;; [unrolled: 1-line block ×3, first 2 shown]
	v_add_f64_e32 v[0:1], v[0:1], v[52:53]
	v_add_f64_e32 v[2:3], v[2:3], v[62:63]
	v_add_f64_e32 v[54:55], v[235:236], v[54:55]
	v_mul_f64_e32 v[235:236], s[10:11], v[48:49]
	v_fma_f64 v[70:71], v[70:71], s[10:11], v[50:51]
	v_fma_f64 v[169:170], v[165:166], s[12:13], -v[169:170]
	v_fma_f64 v[50:51], v[165:166], s[24:25], -v[50:51]
	v_mul_f64_e32 v[165:166], s[6:7], v[58:59]
	v_fma_f64 v[76:77], v[76:77], s[10:11], v[64:65]
	v_fma_f64 v[171:172], v[167:168], s[12:13], -v[171:172]
	v_fma_f64 v[64:65], v[167:168], s[24:25], -v[64:65]
	v_mul_f64_e32 v[167:168], s[6:7], v[36:37]
	v_add_f64_e32 v[40:41], v[237:238], v[40:41]
	v_mul_f64_e32 v[237:238], s[10:11], v[56:57]
	v_fma_f64 v[78:79], v[78:79], s[6:7], -v[173:174]
	v_fma_f64 v[173:174], v[86:87], s[22:23], v[173:174]
	v_fma_f64 v[80:81], v[80:81], s[6:7], -v[175:176]
	v_fma_f64 v[175:176], v[90:91], s[22:23], v[175:176]
	s_wait_alu 0xfffe
	v_fma_f64 v[86:87], v[86:87], s[20:21], -v[177:178]
	v_fma_f64 v[90:91], v[90:91], s[20:21], -v[179:180]
	v_fma_f64 v[119:120], v[119:120], s[10:11], v[111:112]
	v_fma_f64 v[121:122], v[121:122], s[10:11], v[113:114]
	v_fma_f64 v[177:178], v[181:182], s[12:13], -v[185:186]
	v_fma_f64 v[179:180], v[183:184], s[12:13], -v[187:188]
	;; [unrolled: 1-line block ×4, first 2 shown]
	v_fma_f64 v[181:182], v[115:116], s[22:23], v[189:190]
	v_fma_f64 v[183:184], v[117:118], s[22:23], v[191:192]
	v_fma_f64 v[123:124], v[123:124], s[2:3], v[16:17]
	v_fma_f64 v[125:126], v[125:126], s[2:3], v[18:19]
	v_fma_f64 v[107:108], v[107:108], s[6:7], -v[189:190]
	v_fma_f64 v[109:110], v[109:110], s[6:7], -v[191:192]
	v_fma_f64 v[32:33], v[32:33], s[2:3], v[4:5]
	v_fma_f64 v[60:61], v[60:61], s[2:3], v[6:7]
	v_fma_f64 v[58:59], v[58:59], s[6:7], -v[82:83]
	v_fma_f64 v[115:116], v[115:116], s[20:21], -v[193:194]
	v_fma_f64 v[117:118], v[117:118], s[20:21], -v[195:196]
	v_fma_f64 v[133:134], v[133:134], s[10:11], v[127:128]
	v_fma_f64 v[135:136], v[135:136], s[10:11], v[129:130]
	v_fma_f64 v[189:190], v[145:146], s[22:23], v[205:206]
	v_fma_f64 v[191:192], v[159:160], s[22:23], v[207:208]
	v_fma_f64 v[139:140], v[139:140], s[2:3], v[8:9]
	v_fma_f64 v[141:142], v[141:142], s[2:3], v[10:11]
	v_fma_f64 v[127:128], v[197:198], s[24:25], -v[127:128]
	v_fma_f64 v[129:130], v[199:200], s[24:25], -v[129:130]
	v_fma_f64 v[94:95], v[94:95], s[6:7], -v[205:206]
	v_fma_f64 v[137:138], v[137:138], s[6:7], -v[207:208]
	v_fma_f64 v[145:146], v[145:146], s[20:21], -v[209:210]
	v_fma_f64 v[159:160], v[159:160], s[20:21], -v[211:212]
	v_fma_f64 v[185:186], v[197:198], s[12:13], -v[201:202]
	v_fma_f64 v[187:188], v[199:200], s[12:13], -v[203:204]
	v_fma_f64 v[46:47], v[46:47], s[10:11], v[161:162]
	v_fma_f64 v[74:75], v[74:75], s[10:11], v[163:164]
	v_fma_f64 v[197:198], v[30:31], s[22:23], v[223:224]
	v_fma_f64 v[199:200], v[34:35], s[22:23], v[225:226]
	v_fma_f64 v[26:27], v[26:27], s[2:3], v[12:13]
	v_fma_f64 v[72:73], v[72:73], s[2:3], v[14:15]
	v_fma_f64 v[161:162], v[213:214], s[24:25], -v[161:162]
	v_fma_f64 v[163:164], v[215:216], s[24:25], -v[163:164]
	v_fma_f64 v[30:31], v[30:31], s[20:21], -v[227:228]
	v_fma_f64 v[34:35], v[34:35], s[20:21], -v[229:230]
	v_fma_f64 v[193:194], v[213:214], s[12:13], -v[219:220]
	;; [unrolled: 14-line block ×3, first 2 shown]
	v_fma_f64 v[203:204], v[233:234], s[12:13], -v[237:238]
	v_fma_f64 v[36:37], v[36:37], s[6:7], -v[84:85]
	v_fma_f64 v[82:83], v[66:67], s[18:19], v[173:174]
	v_fma_f64 v[84:85], v[68:69], s[18:19], v[175:176]
	;; [unrolled: 1-line block ×8, first 2 shown]
	v_add_f64_e32 v[119:120], v[119:120], v[123:124]
	v_add_f64_e32 v[121:122], v[121:122], v[125:126]
	v_fma_f64 v[107:108], v[103:104], s[18:19], v[107:108]
	v_fma_f64 v[109:110], v[105:106], s[18:19], v[109:110]
	v_add_f64_e32 v[70:71], v[70:71], v[32:33]
	v_add_f64_e32 v[76:77], v[76:77], v[60:61]
	v_fma_f64 v[181:182], v[54:55], s[18:19], v[58:59]
	v_add_f64_e32 v[111:112], v[111:112], v[123:124]
	v_add_f64_e32 v[58:59], v[177:178], v[123:124]
	;; [unrolled: 1-line block ×5, first 2 shown]
	v_fma_f64 v[103:104], v[103:104], s[18:19], v[115:116]
	v_fma_f64 v[105:106], v[105:106], s[18:19], v[117:118]
	v_add_f64_e32 v[32:33], v[169:170], v[32:33]
	v_add_f64_e32 v[60:61], v[171:172], v[60:61]
	;; [unrolled: 1-line block ×3, first 2 shown]
	v_fma_f64 v[115:116], v[131:132], s[18:19], v[189:190]
	v_fma_f64 v[117:118], v[92:93], s[18:19], v[191:192]
	v_add_f64_e32 v[125:126], v[133:134], v[139:140]
	v_add_f64_e32 v[133:134], v[135:136], v[141:142]
	v_fma_f64 v[94:95], v[131:132], s[18:19], v[94:95]
	v_fma_f64 v[137:138], v[92:93], s[18:19], v[137:138]
	;; [unrolled: 1-line block ×4, first 2 shown]
	v_add_f64_e32 v[127:128], v[127:128], v[139:140]
	v_add_f64_e32 v[129:130], v[129:130], v[141:142]
	;; [unrolled: 1-line block ×4, first 2 shown]
	v_fma_f64 v[145:146], v[42:43], s[18:19], v[197:198]
	v_fma_f64 v[159:160], v[20:21], s[18:19], v[199:200]
	v_add_f64_e32 v[139:140], v[46:47], v[26:27]
	v_add_f64_e32 v[141:142], v[74:75], v[72:73]
	v_fma_f64 v[169:170], v[42:43], s[18:19], v[30:31]
	v_fma_f64 v[171:172], v[20:21], s[18:19], v[34:35]
	v_add_f64_e32 v[161:162], v[161:162], v[26:27]
	v_add_f64_e32 v[163:164], v[163:164], v[72:73]
	;; [unrolled: 4-line block ×5, first 2 shown]
	v_add_f64_e32 v[201:202], v[88:89], v[62:63]
	v_fma_f64 v[183:184], v[40:41], s[18:19], v[36:37]
	v_add_f64_e32 v[197:198], v[203:204], v[62:63]
	v_add_f64_e32 v[44:45], v[90:91], v[119:120]
	v_add_f64_e64 v[46:47], v[121:122], -v[86:87]
	v_add_f64_e32 v[20:21], v[84:85], v[70:71]
	v_add_f64_e64 v[22:23], v[76:77], -v[82:83]
	v_add_f64_e64 v[52:53], v[58:59], -v[109:110]
	v_add_f64_e32 v[54:55], v[107:108], v[123:124]
	v_add_f64_e32 v[24:25], v[68:69], v[50:51]
	v_add_f64_e64 v[26:27], v[64:65], -v[66:67]
	v_add_f64_e32 v[56:57], v[109:110], v[58:59]
	v_add_f64_e64 v[58:59], v[123:124], -v[107:108]
	v_add_f64_e64 v[28:29], v[32:33], -v[80:81]
	v_add_f64_e32 v[30:31], v[78:79], v[60:61]
	v_add_f64_e64 v[34:35], v[60:61], -v[78:79]
	v_add_f64_e64 v[60:61], v[111:112], -v[105:106]
	v_add_f64_e32 v[62:63], v[103:104], v[113:114]
	v_add_f64_e32 v[32:33], v[80:81], v[32:33]
	;; [unrolled: 1-line block ×3, first 2 shown]
	v_add_f64_e64 v[64:65], v[119:120], -v[90:91]
	v_add_f64_e32 v[66:67], v[86:87], v[121:122]
	v_add_f64_e64 v[36:37], v[50:51], -v[68:69]
	v_add_f64_e64 v[40:41], v[70:71], -v[84:85]
	v_add_f64_e32 v[42:43], v[82:83], v[76:77]
	v_add_f64_e32 v[68:69], v[117:118], v[125:126]
	v_add_f64_e64 v[70:71], v[133:134], -v[115:116]
	v_add_f64_e32 v[72:73], v[92:93], v[127:128]
	v_add_f64_e64 v[74:75], v[129:130], -v[131:132]
	v_add_f64_e64 v[76:77], v[135:136], -v[137:138]
	v_add_f64_e32 v[78:79], v[94:95], v[185:186]
	v_add_f64_e32 v[80:81], v[137:138], v[135:136]
	v_add_f64_e64 v[82:83], v[185:186], -v[94:95]
	v_add_f64_e64 v[84:85], v[127:128], -v[92:93]
	v_add_f64_e32 v[86:87], v[131:132], v[129:130]
	v_add_f64_e64 v[88:89], v[125:126], -v[117:118]
	v_add_f64_e32 v[90:91], v[115:116], v[133:134]
	v_add_f64_e32 v[92:93], v[159:160], v[139:140]
	v_add_f64_e64 v[94:95], v[141:142], -v[145:146]
	v_add_f64_e32 v[48:49], v[105:106], v[111:112]
	v_add_f64_e64 v[50:51], v[113:114], -v[103:104]
	;; [unrolled: 2-line block ×3, first 2 shown]
	v_add_f64_e64 v[107:108], v[187:188], -v[167:168]
	v_add_f64_e32 v[109:110], v[165:166], v[189:190]
	v_add_f64_e32 v[111:112], v[167:168], v[187:188]
	v_add_f64_e64 v[113:114], v[189:190], -v[165:166]
	v_add_f64_e64 v[115:116], v[161:162], -v[171:172]
	v_add_f64_e32 v[117:118], v[169:170], v[163:164]
	v_add_f64_e64 v[119:120], v[139:140], -v[159:160]
	v_add_f64_e32 v[121:122], v[145:146], v[141:142]
	v_add_f64_e32 v[123:124], v[175:176], v[191:192]
	v_add_f64_e64 v[125:126], v[193:194], -v[173:174]
	v_add_f64_e32 v[127:128], v[179:180], v[199:200]
	v_add_f64_e64 v[129:130], v[201:202], -v[177:178]
	v_add_f64_e64 v[131:132], v[195:196], -v[183:184]
	v_add_f64_e32 v[133:134], v[181:182], v[197:198]
	v_add_f64_e32 v[135:136], v[183:184], v[195:196]
	v_add_f64_e64 v[137:138], v[197:198], -v[181:182]
	v_add_f64_e64 v[139:140], v[199:200], -v[179:180]
	v_add_f64_e32 v[141:142], v[177:178], v[201:202]
	v_add_f64_e64 v[159:160], v[191:192], -v[175:176]
	v_add_f64_e32 v[161:162], v[173:174], v[193:194]
	ds_store_b128 v247, v[4:7]
	ds_store_b128 v247, v[20:23] offset:896
	ds_store_b128 v247, v[24:27] offset:1792
	;; [unrolled: 1-line block ×7, first 2 shown]
	scratch_store_b32 off, v251, off offset:76 ; 4-byte Folded Spill
	ds_store_b128 v251, v[44:47]
	ds_store_b128 v247, v[52:55] offset:8960
	ds_store_b128 v247, v[56:59] offset:9856
	;; [unrolled: 1-line block ×26, first 2 shown]
	global_wb scope:SCOPE_SE
	s_wait_storecnt_dscnt 0x0
	s_barrier_signal -1
	s_barrier_wait -1
	global_inv scope:SCOPE_SE
	s_clause 0x3
	global_load_b128 v[0:3], v[217:218], off offset:6208
	global_load_b128 v[4:7], v[217:218], off offset:6224
	;; [unrolled: 1-line block ×4, first 2 shown]
	v_mov_b32_e32 v101, v158
	v_lshlrev_b64_e32 v[82:83], 4, v[157:158]
	s_mov_b32 s12, 0x134454ff
	s_mov_b32 s13, 0xbfee6f0e
	;; [unrolled: 1-line block ×3, first 2 shown]
	v_lshlrev_b64_e32 v[16:17], 4, v[100:101]
	v_mov_b32_e32 v100, v158
	s_mov_b32 s3, 0xbfe2cf23
	s_mov_b32 s15, 0x3fee6f0e
	s_wait_alu 0xfffe
	s_mov_b32 s14, s12
	s_mov_b32 s7, 0x3fe2cf23
	v_lshlrev_b64_e32 v[30:31], 4, v[99:100]
	v_mov_b32_e32 v99, v158
	v_add_co_u32 v28, s1, s4, v16
	s_wait_alu 0xf1ff
	v_add_co_ci_u32_e64 v29, s1, s5, v17, s1
	s_delay_alu instid0(VALU_DEP_3)
	v_lshlrev_b64_e32 v[48:49], 4, v[98:99]
	v_add_co_u32 v44, s1, s4, v30
	s_wait_alu 0xf1ff
	v_add_co_ci_u32_e64 v45, s1, s5, v31, s1
	global_load_b128 v[16:19], v[28:29], off offset:6208
	v_add_co_u32 v60, s1, s4, v48
	s_clause 0x5
	global_load_b128 v[20:23], v[28:29], off offset:6224
	global_load_b128 v[24:27], v[28:29], off offset:6240
	;; [unrolled: 1-line block ×6, first 2 shown]
	s_wait_alu 0xf1ff
	v_add_co_ci_u32_e64 v61, s1, s5, v49, s1
	global_load_b128 v[44:47], v[44:45], off offset:6256
	v_mov_b32_e32 v98, v158
	s_mov_b32 s6, s2
	s_clause 0x2
	global_load_b128 v[48:51], v[60:61], off offset:6208
	global_load_b128 v[52:55], v[60:61], off offset:6224
	;; [unrolled: 1-line block ×3, first 2 shown]
	s_mov_b32 s10, 0x372fe950
	v_lshlrev_b64_e32 v[62:63], 4, v[97:98]
	v_mov_b32_e32 v97, v158
	s_mov_b32 s11, 0x3fd3c6ef
	s_delay_alu instid0(VALU_DEP_1) | instskip(NEXT) | instid1(VALU_DEP_3)
	v_lshlrev_b64_e32 v[78:79], 4, v[96:97]
	v_add_co_u32 v76, s1, s4, v62
	s_wait_alu 0xf1ff
	v_add_co_ci_u32_e64 v77, s1, s5, v63, s1
	global_load_b128 v[60:63], v[60:61], off offset:6256
	v_add_co_u32 v80, s1, s4, v78
	s_wait_alu 0xf1ff
	v_add_co_ci_u32_e64 v81, s1, s5, v79, s1
	v_add_co_u32 v82, s1, s4, v82
	s_wait_alu 0xf1ff
	v_add_co_ci_u32_e64 v83, s1, s5, v83, s1
	s_clause 0xb
	global_load_b128 v[64:67], v[76:77], off offset:6208
	global_load_b128 v[68:71], v[76:77], off offset:6224
	;; [unrolled: 1-line block ×12, first 2 shown]
	scratch_store_b32 off, v252, off offset:80 ; 4-byte Folded Spill
	ds_load_b128 v[80:83], v252
	ds_load_b128 v[84:87], v247 offset:12544
	ds_load_b128 v[114:117], v247 offset:18816
	ds_load_b128 v[128:131], v247 offset:25088
	ds_load_b128 v[132:135], v247 offset:7168
	ds_load_b128 v[136:139], v247 offset:13440
	ds_load_b128 v[229:232], v253
	ds_load_b128 v[163:166], v247 offset:11648
	ds_load_b128 v[140:143], v247 offset:19712
	ds_load_b128 v[157:160], v247 offset:25984
	ds_load_b128 v[167:170], v247 offset:24192
	ds_load_b128 v[171:174], v247 offset:8064
	;; [unrolled: 6-line block ×3, first 2 shown]
	ds_load_b128 v[199:202], v247 offset:15232
	ds_load_b128 v[203:206], v247 offset:16128
	;; [unrolled: 1-line block ×4, first 2 shown]
	s_clause 0x1
	scratch_store_b32 off, v246, off offset:32
	scratch_store_b32 off, v253, off offset:84
	s_wait_loadcnt_dscnt 0x1b15
	v_mul_f64_e32 v[100:101], v[82:83], v[2:3]
	v_mul_f64_e32 v[2:3], v[80:81], v[2:3]
	s_wait_loadcnt_dscnt 0x1813
	v_mul_f64_e32 v[145:146], v[116:117], v[14:15]
	v_mul_f64_e32 v[14:15], v[114:115], v[14:15]
	;; [unrolled: 1-line block ×4, first 2 shown]
	s_wait_dscnt 0x12
	v_mul_f64_e32 v[161:162], v[130:131], v[10:11]
	v_mul_f64_e32 v[10:11], v[128:129], v[10:11]
	s_wait_loadcnt_dscnt 0x1711
	v_mul_f64_e32 v[219:220], v[134:135], v[18:19]
	v_mul_f64_e32 v[18:19], v[132:133], v[18:19]
	s_wait_loadcnt_dscnt 0x1610
	;; [unrolled: 3-line block ×3, first 2 shown]
	v_mul_f64_e32 v[239:240], v[173:174], v[34:35]
	v_mul_f64_e32 v[233:234], v[142:143], v[26:27]
	;; [unrolled: 1-line block ×6, first 2 shown]
	v_fma_f64 v[241:242], v[80:81], v[0:1], v[100:101]
	v_fma_f64 v[243:244], v[82:83], v[0:1], -v[2:3]
	v_fma_f64 v[145:146], v[114:115], v[12:13], v[145:146]
	v_fma_f64 v[147:148], v[116:117], v[12:13], -v[14:15]
	s_wait_loadcnt_dscnt 0x1107
	v_mul_f64_e32 v[12:13], v[183:184], v[42:43]
	v_mul_f64_e32 v[82:83], v[185:186], v[42:43]
	s_wait_loadcnt_dscnt 0x1006
	v_mul_f64_e32 v[14:15], v[189:190], v[46:47]
	v_mul_f64_e32 v[42:43], v[187:188], v[46:47]
	s_wait_loadcnt_dscnt 0xd04
	v_mul_f64_e32 v[46:47], v[197:198], v[58:59]
	v_fma_f64 v[245:246], v[84:85], v[4:5], v[118:119]
	v_fma_f64 v[252:253], v[86:87], v[4:5], -v[6:7]
	ds_load_b128 v[0:3], v247 offset:9856
	ds_load_b128 v[4:7], v247 offset:10752
	s_clause 0x1
	scratch_store_b32 off, v248, off offset:36
	scratch_store_b32 off, v249, off offset:40
	v_fma_f64 v[248:249], v[128:129], v[8:9], v[161:162]
	v_fma_f64 v[250:251], v[130:131], v[8:9], -v[10:11]
	ds_load_b128 v[8:11], v247 offset:22400
	ds_load_b128 v[215:218], v247 offset:23296
	v_mul_f64_e32 v[58:59], v[195:196], v[58:59]
	v_mul_f64_e32 v[80:81], v[181:182], v[38:39]
	;; [unrolled: 1-line block ×3, first 2 shown]
	s_wait_loadcnt_dscnt 0xc05
	v_mul_f64_e32 v[84:85], v[209:210], v[62:63]
	v_mul_f64_e32 v[62:63], v[207:208], v[62:63]
	s_wait_loadcnt 0x3
	v_mul_f64_e32 v[154:155], v[165:166], v[108:109]
	v_fma_f64 v[116:117], v[132:133], v[16:17], v[219:220]
	v_fma_f64 v[130:131], v[134:135], v[16:17], -v[18:19]
	ds_load_b128 v[219:222], v247 offset:17024
	ds_load_b128 v[223:226], v247 offset:17920
	v_mul_f64_e32 v[16:17], v[193:194], v[50:51]
	v_fma_f64 v[171:172], v[171:172], v[32:33], v[239:240]
	v_fma_f64 v[227:228], v[136:137], v[20:21], v[227:228]
	v_fma_f64 v[150:151], v[138:139], v[20:21], -v[22:23]
	v_mul_f64_e32 v[18:19], v[191:192], v[50:51]
	v_fma_f64 v[50:51], v[140:141], v[24:25], v[233:234]
	v_fma_f64 v[254:255], v[142:143], v[24:25], -v[26:27]
	ds_load_b128 v[24:27], v247 offset:29568
	ds_load_b128 v[233:236], v247 offset:30464
	v_mul_f64_e32 v[20:21], v[201:202], v[54:55]
	v_mul_f64_e32 v[22:23], v[199:200], v[54:55]
	v_fma_f64 v[54:55], v[157:158], v[28:29], v[237:238]
	v_fma_f64 v[237:238], v[159:160], v[28:29], -v[30:31]
	v_fma_f64 v[173:174], v[173:174], v[32:33], -v[34:35]
	s_wait_dscnt 0x7
	v_mul_f64_e32 v[86:87], v[2:3], v[66:67]
	v_fma_f64 v[239:240], v[185:186], v[40:41], -v[12:13]
	v_lshl_add_u32 v12, v149, 4, 0
	v_fma_f64 v[152:153], v[187:188], v[44:45], v[14:15]
	v_fma_f64 v[189:190], v[189:190], v[44:45], -v[42:43]
	v_fma_f64 v[195:196], v[195:196], v[56:57], v[46:47]
	ds_load_b128 v[44:47], v156
	ds_load_b128 v[28:31], v12
	scratch_load_b32 v12, off, off offset:40 ; 4-byte Folded Reload
	v_mul_f64_e32 v[66:67], v[0:1], v[66:67]
	s_wait_dscnt 0x7
	v_mul_f64_e32 v[138:139], v[10:11], v[74:75]
	v_mul_f64_e32 v[74:75], v[8:9], v[74:75]
	;; [unrolled: 1-line block ×3, first 2 shown]
	v_fma_f64 v[197:198], v[197:198], v[56:57], -v[58:59]
	v_fma_f64 v[179:180], v[179:180], v[36:37], v[80:81]
	v_fma_f64 v[181:182], v[181:182], v[36:37], -v[38:39]
	s_wait_loadcnt_dscnt 0x102
	v_mul_f64_e32 v[56:57], v[233:234], v[126:127]
	v_mul_f64_e32 v[159:160], v[6:7], v[90:91]
	v_mul_f64_e32 v[90:91], v[4:5], v[90:91]
	v_mul_f64_e32 v[134:135], v[205:206], v[70:71]
	v_mul_f64_e32 v[70:71], v[203:204], v[70:71]
	v_mul_f64_e32 v[78:79], v[211:212], v[78:79]
	v_fma_f64 v[183:184], v[183:184], v[40:41], v[82:83]
	v_mul_f64_e32 v[161:162], v[221:222], v[94:95]
	v_mul_f64_e32 v[94:95], v[219:220], v[94:95]
	v_fma_f64 v[100:101], v[191:192], v[48:49], v[16:17]
	v_mul_f64_e32 v[191:192], v[235:236], v[126:127]
	v_mul_f64_e32 v[185:186], v[217:218], v[98:99]
	;; [unrolled: 1-line block ×5, first 2 shown]
	v_fma_f64 v[114:115], v[193:194], v[48:49], -v[18:19]
	v_mul_f64_e32 v[16:17], v[163:164], v[108:109]
	v_mul_f64_e32 v[48:49], v[225:226], v[112:113]
	;; [unrolled: 1-line block ×4, first 2 shown]
	v_fma_f64 v[118:119], v[199:200], v[52:53], v[20:21]
	v_fma_f64 v[128:129], v[201:202], v[52:53], -v[22:23]
	v_fma_f64 v[132:133], v[0:1], v[64:65], v[86:87]
	v_add_f64_e32 v[0:1], v[175:176], v[241:242]
	v_mul_f64_e32 v[52:53], v[167:168], v[122:123]
	v_fma_f64 v[22:23], v[207:208], v[60:61], v[84:85]
	v_fma_f64 v[13:14], v[209:210], v[60:61], -v[62:63]
	v_add_f64_e64 v[84:85], v[241:242], -v[245:246]
	v_add_f64_e32 v[58:59], v[241:242], v[248:249]
	v_add_f64_e64 v[82:83], v[245:246], -v[241:242]
	v_add_f64_e64 v[80:81], v[248:249], -v[145:146]
	v_fma_f64 v[140:141], v[2:3], v[64:65], -v[66:67]
	v_add_f64_e32 v[2:3], v[177:178], v[243:244]
	v_fma_f64 v[86:87], v[8:9], v[72:73], v[138:139]
	v_fma_f64 v[126:127], v[10:11], v[72:73], -v[74:75]
	s_wait_dscnt 0x0
	v_add_f64_e32 v[8:9], v[28:29], v[116:117]
	v_add_f64_e32 v[10:11], v[30:31], v[130:131]
	v_fma_f64 v[60:61], v[211:212], v[76:77], v[142:143]
	v_fma_f64 v[199:200], v[235:236], v[124:125], -v[56:57]
	v_fma_f64 v[142:143], v[4:5], v[88:89], v[159:160]
	v_fma_f64 v[159:160], v[6:7], v[88:89], -v[90:91]
	;; [unrolled: 2-line block ×3, first 2 shown]
	v_fma_f64 v[62:63], v[213:214], v[76:77], -v[78:79]
	v_add_f64_e64 v[211:212], v[241:242], -v[248:249]
	v_fma_f64 v[138:139], v[219:220], v[92:93], v[161:162]
	v_fma_f64 v[161:162], v[221:222], v[92:93], -v[94:95]
	v_add_f64_e64 v[56:57], v[243:244], -v[252:253]
	v_add_f64_e32 v[70:71], v[243:244], v[250:251]
	v_fma_f64 v[94:95], v[215:216], v[96:97], v[185:186]
	v_fma_f64 v[88:89], v[217:218], v[96:97], -v[98:99]
	v_fma_f64 v[66:67], v[24:25], v[102:103], v[187:188]
	v_fma_f64 v[26:27], v[26:27], v[102:103], -v[104:105]
	;; [unrolled: 2-line block ×4, first 2 shown]
	v_fma_f64 v[98:99], v[167:168], v[120:121], v[112:113]
	v_add_f64_e32 v[48:49], v[245:246], v[145:146]
	v_add_f64_e64 v[185:186], v[243:244], -v[250:251]
	v_add_f64_e64 v[108:109], v[245:246], -v[145:146]
	v_add_f64_e32 v[0:1], v[0:1], v[245:246]
	v_fma_f64 v[90:91], v[169:170], v[120:121], -v[52:53]
	v_fma_f64 v[52:53], v[233:234], v[124:125], v[191:192]
	v_add_f64_e64 v[154:155], v[252:253], -v[243:244]
	v_add_f64_e32 v[72:73], v[227:228], v[50:51]
	v_add_f64_e64 v[235:236], v[116:117], -v[227:228]
	v_add_f64_e64 v[241:242], v[54:55], -v[50:51]
	v_add_f64_e32 v[76:77], v[116:117], v[54:55]
	v_add_f64_e64 v[243:244], v[227:228], -v[116:117]
	v_add_f64_e32 v[2:3], v[2:3], v[252:253]
	;; [unrolled: 2-line block ×3, first 2 shown]
	v_add_f64_e32 v[8:9], v[8:9], v[227:228]
	v_add_f64_e32 v[10:11], v[10:11], v[150:151]
	v_add_f64_e64 v[110:111], v[116:117], -v[54:55]
	v_add_f64_e64 v[124:125], v[227:228], -v[50:51]
	v_add_f64_e32 v[165:166], v[179:180], v[183:184]
	v_add_f64_e64 v[219:220], v[171:172], -v[179:180]
	v_add_f64_e32 v[167:168], v[171:172], v[152:153]
	v_add_f64_e64 v[223:224], v[179:180], -v[171:172]
	v_add_f64_e64 v[116:117], v[171:172], -v[152:153]
	v_add_f64_e32 v[64:65], v[252:253], v[147:148]
	v_add_f64_e32 v[163:164], v[130:131], v[237:238]
	;; [unrolled: 1-line block ×4, first 2 shown]
	v_add_f64_e64 v[106:107], v[252:253], -v[147:148]
	v_add_f64_e64 v[74:75], v[145:146], -v[248:249]
	;; [unrolled: 1-line block ×10, first 2 shown]
	v_fma_f64 v[213:214], v[48:49], -0.5, v[175:176]
	v_add_f64_e32 v[48:49], v[159:160], v[26:27]
	v_add_f64_e64 v[92:93], v[181:182], -v[239:240]
	v_add_f64_e32 v[0:1], v[0:1], v[145:146]
	v_add_f64_e32 v[20:21], v[138:139], v[94:95]
	;; [unrolled: 1-line block ×3, first 2 shown]
	v_add_f64_e64 v[112:113], v[173:174], -v[189:190]
	v_fma_f64 v[205:206], v[72:73], -0.5, v[28:29]
	v_add_f64_e64 v[72:73], v[100:101], -v[118:119]
	v_add_f64_e64 v[68:69], v[250:251], -v[147:148]
	v_fma_f64 v[203:204], v[76:77], -0.5, v[28:29]
	v_add_f64_e64 v[215:216], v[237:238], -v[254:255]
	v_add_f64_e32 v[2:3], v[2:3], v[147:148]
	v_add_f64_e64 v[217:218], v[254:255], -v[237:238]
	v_fma_f64 v[201:202], v[78:79], -0.5, v[30:31]
	v_add_f64_e32 v[50:51], v[8:9], v[50:51]
	v_add_f64_e32 v[8:9], v[136:137], v[86:87]
	v_add_f64_e64 v[24:25], v[173:174], -v[181:182]
	v_add_f64_e32 v[145:146], v[118:119], v[195:196]
	v_fma_f64 v[175:176], v[58:59], -0.5, v[175:176]
	v_add_f64_e32 v[58:59], v[96:97], v[98:99]
	v_add_f64_e32 v[147:148], v[100:101], v[22:23]
	v_add_f64_e32 v[227:228], v[128:129], v[197:198]
	v_add_f64_e32 v[15:16], v[140:141], v[62:63]
	v_fma_f64 v[209:210], v[64:65], -0.5, v[177:178]
	v_fma_f64 v[76:77], v[163:164], -0.5, v[30:31]
	v_add_f64_e64 v[64:65], v[181:182], -v[173:174]
	v_add_f64_e32 v[28:29], v[102:103], v[52:53]
	v_fma_f64 v[207:208], v[70:71], -0.5, v[177:178]
	v_add_f64_e32 v[30:31], v[122:123], v[90:91]
	v_add_f64_e32 v[193:194], v[157:158], v[126:127]
	;; [unrolled: 1-line block ×3, first 2 shown]
	v_dual_mov_b32 v249, v23 :: v_dual_mov_b32 v248, v22
	v_add_f64_e32 v[68:69], v[56:57], v[68:69]
	v_add_f64_e32 v[56:57], v[243:244], v[245:246]
	v_add_f64_e64 v[245:246], v[199:200], -v[90:91]
	v_add_f64_e32 v[2:3], v[2:3], v[250:251]
	v_add_f64_e32 v[250:251], v[154:155], v[233:234]
	v_add_f64_e64 v[154:155], v[86:87], -v[60:61]
	v_add_f64_e64 v[233:234], v[140:141], -v[157:158]
	;; [unrolled: 1-line block ×3, first 2 shown]
	s_wait_loadcnt 0x0
	ds_load_b128 v[32:35], v12
	scratch_load_b32 v12, off, off offset:36 ; 4-byte Folded Reload
	s_wait_dscnt 0x0
	v_add_f64_e32 v[4:5], v[32:33], v[171:172]
	v_add_f64_e32 v[6:7], v[34:35], v[173:174]
	;; [unrolled: 1-line block ×3, first 2 shown]
	v_fma_f64 v[78:79], v[165:166], -0.5, v[32:33]
	v_fma_f64 v[191:192], v[167:168], -0.5, v[32:33]
	v_add_f64_e32 v[165:166], v[50:51], v[54:55]
	v_fma_f64 v[163:164], v[169:170], -0.5, v[34:35]
	v_add_f64_e32 v[32:33], v[134:135], v[199:200]
	v_add_f64_e32 v[10:11], v[132:133], v[60:61]
	v_add_f64_e64 v[50:51], v[195:196], -v[22:23]
	v_fma_f64 v[173:174], v[20:21], -0.5, v[44:45]
	v_add_f64_e32 v[254:255], v[114:115], v[13:14]
	v_add_f64_e32 v[20:21], v[223:224], v[225:226]
	v_add_f64_e32 v[4:5], v[4:5], v[179:180]
	v_add_f64_e32 v[6:7], v[6:7], v[181:182]
	v_add_f64_e32 v[167:168], v[171:172], v[237:238]
	scratch_store_b128 off, v[0:3], off offset:108 ; 16-byte Folded Spill
	v_add_f64_e64 v[0:1], v[22:23], -v[195:196]
	v_fma_f64 v[179:180], v[187:188], -0.5, v[34:35]
	v_add_f64_e64 v[34:35], v[189:190], -v[239:240]
	v_add_f64_e64 v[237:238], v[118:119], -v[100:101]
	v_fma_f64 v[171:172], v[18:19], -0.5, v[44:45]
	v_add_f64_e64 v[18:19], v[128:129], -v[114:115]
	v_add_f64_e32 v[183:184], v[4:5], v[183:184]
	v_add_f64_e32 v[4:5], v[6:7], v[239:240]
	scratch_store_b128 off, v[165:168], off offset:204 ; 16-byte Folded Spill
	v_add_f64_e32 v[6:7], v[161:162], v[88:89]
	v_add_f64_e64 v[239:240], v[239:240], -v[189:190]
	v_add_f64_e32 v[0:1], v[72:73], v[0:1]
	v_fma_f64 v[167:168], v[48:49], -0.5, v[46:47]
	v_add_f64_e32 v[22:23], v[237:238], v[50:51]
	v_add_f64_e64 v[50:51], v[159:160], -v[161:162]
	v_add_f64_e64 v[72:73], v[26:27], -v[88:89]
	v_fma_f64 v[165:166], v[58:59], -0.5, v[229:230]
	v_add_f64_e32 v[58:59], v[24:25], v[34:35]
	v_mov_b32_e32 v34, v66
	v_add_f64_e32 v[48:49], v[235:236], v[241:242]
	v_add_f64_e64 v[237:238], v[134:135], -v[122:123]
	v_dual_mov_b32 v24, v62 :: v_dual_mov_b32 v25, v63
	v_add_f64_e64 v[241:242], v[52:53], -v[98:99]
	v_mov_b32_e32 v35, v67
	v_add_f64_e32 v[2:3], v[183:184], v[152:153]
	v_add_f64_e32 v[4:5], v[4:5], v[189:190]
	;; [unrolled: 1-line block ×3, first 2 shown]
	v_fma_f64 v[169:170], v[6:7], -0.5, v[46:47]
	v_fma_f64 v[44:45], v[32:33], -0.5, v[231:232]
	v_add_f64_e64 v[32:33], v[60:61], -v[86:87]
	scratch_store_b64 off, v[0:1], off offset:172 ; 8-byte Folded Spill
	v_add_f64_e64 v[0:1], v[94:95], -v[66:67]
	v_fma_f64 v[6:7], v[28:29], -0.5, v[229:230]
	s_wait_loadcnt 0x0
	ds_load_b128 v[36:39], v12
	scratch_load_b32 v12, off, off offset:32 ; 4-byte Folded Reload
	s_wait_dscnt 0x0
	v_fma_f64 v[54:55], v[145:146], -0.5, v[36:37]
	v_dual_mov_b32 v146, v14 :: v_dual_mov_b32 v145, v13
	v_add_f64_e32 v[70:71], v[36:37], v[100:101]
	v_fma_f64 v[147:148], v[147:148], -0.5, v[36:37]
	v_fma_f64 v[187:188], v[227:228], -0.5, v[38:39]
	;; [unrolled: 1-line block ×3, first 2 shown]
	v_add_f64_e32 v[227:228], v[38:39], v[114:115]
	v_add_f64_e64 v[36:37], v[114:115], -v[128:129]
	v_add_f64_e64 v[38:39], v[13:14], -v[197:198]
	;; [unrolled: 1-line block ×3, first 2 shown]
	v_add_f64_e32 v[235:236], v[70:71], v[118:119]
	v_add_f64_e32 v[70:71], v[152:153], v[138:139]
	v_add_f64_e64 v[152:153], v[157:158], -v[126:127]
	v_add_f64_e32 v[36:37], v[36:37], v[38:39]
	v_add_f64_e32 v[38:39], v[18:19], v[28:29]
	v_dual_mov_b32 v28, v199 :: v_dual_mov_b32 v29, v200
	v_add_f64_e32 v[223:224], v[235:236], v[195:196]
	s_wait_loadcnt 0x0
	ds_load_b128 v[40:43], v12
	v_add_f64_e32 v[12:13], v[229:230], v[102:103]
	v_add_f64_e64 v[229:230], v[161:162], -v[159:160]
	s_wait_dscnt 0x0
	v_fma_f64 v[189:190], v[8:9], -0.5, v[40:41]
	v_add_f64_e32 v[8:9], v[46:47], v[159:160]
	v_add_f64_e32 v[46:47], v[82:83], v[74:75]
	v_dual_mov_b32 v75, v61 :: v_dual_mov_b32 v74, v60
	v_add_f64_e32 v[60:61], v[64:65], v[239:240]
	v_add_f64_e64 v[64:65], v[138:139], -v[142:143]
	v_add_f64_e32 v[254:255], v[40:41], v[132:133]
	v_fma_f64 v[183:184], v[10:11], -0.5, v[40:41]
	v_add_f64_e64 v[40:41], v[136:137], -v[132:133]
	v_fma_f64 v[177:178], v[193:194], -0.5, v[42:43]
	v_add_f64_e32 v[10:11], v[42:43], v[140:141]
	v_add_f64_e64 v[239:240], v[88:89], -v[26:27]
	v_add_f64_e32 v[12:13], v[12:13], v[96:97]
	v_add_f64_e32 v[8:9], v[8:9], v[161:162]
	;; [unrolled: 1-line block ×3, first 2 shown]
	scratch_store_b64 off, v[20:21], off offset:220 ; 8-byte Folded Spill
	v_add_f64_e64 v[20:21], v[66:67], -v[94:95]
	v_add_f64_e64 v[64:65], v[100:101], -v[248:249]
	v_add_f64_e32 v[40:41], v[40:41], v[154:155]
	v_add_f64_e32 v[10:11], v[10:11], v[157:158]
	;; [unrolled: 1-line block ×4, first 2 shown]
	v_fma_f64 v[8:9], v[112:113], s[12:13], v[78:79]
	scratch_store_b64 off, v[0:1], off offset:140 ; 8-byte Folded Spill
	v_add_f64_e32 v[0:1], v[50:51], v[72:73]
	scratch_store_b128 off, v[2:5], off offset:92 ; 16-byte Folded Spill
	v_fma_f64 v[4:5], v[15:16], -0.5, v[42:43]
	v_add_f64_e32 v[16:17], v[252:253], v[215:216]
	v_add_f64_e64 v[215:216], v[62:63], -v[126:127]
	v_fma_f64 v[14:15], v[30:31], -0.5, v[231:232]
	v_add_f64_e64 v[30:31], v[132:133], -v[136:137]
	v_add_f64_e32 v[2:3], v[231:232], v[134:135]
	v_add_f64_e32 v[42:43], v[84:85], v[80:81]
	v_add_f64_e64 v[72:73], v[118:119], -v[195:196]
	v_add_f64_e32 v[80:81], v[12:13], v[98:99]
	s_wait_alu 0xfffe
	v_fma_f64 v[12:13], v[92:93], s[14:15], v[191:192]
	v_fma_f64 v[191:192], v[92:93], s[12:13], v[191:192]
	v_add_f64_e64 v[50:51], v[128:129], -v[197:198]
	v_fma_f64 v[195:196], v[112:113], s[14:15], v[78:79]
	v_add_f64_e64 v[231:232], v[102:103], -v[96:97]
	v_add_f64_e32 v[84:85], v[70:71], v[94:95]
	v_fma_f64 v[70:71], v[124:125], s[12:13], v[76:77]
	scratch_store_b64 off, v[0:1], off offset:124 ; 8-byte Folded Spill
	v_add_f64_e32 v[0:1], v[227:228], v[128:129]
	v_add_f64_e64 v[227:228], v[122:123], -v[90:91]
	scratch_store_b64 off, v[16:17], off offset:196 ; 8-byte Folded Spill
	v_add_f64_e32 v[16:17], v[150:151], v[217:218]
	v_add_f64_e64 v[150:151], v[157:158], -v[140:141]
	v_add_f64_e64 v[217:218], v[126:127], -v[62:63]
	v_add_f64_e32 v[18:19], v[233:234], v[215:216]
	v_add_f64_e64 v[215:216], v[136:137], -v[86:87]
	v_add_f64_e32 v[30:31], v[30:31], v[32:33]
	v_dual_mov_b32 v33, v27 :: v_dual_mov_b32 v32, v26
	v_add_f64_e32 v[2:3], v[2:3], v[122:123]
	v_fma_f64 v[157:158], v[185:186], s[14:15], v[213:214]
	v_add_f64_e32 v[128:129], v[237:238], v[245:246]
	v_add_f64_e64 v[233:234], v[96:97], -v[102:103]
	v_add_f64_e64 v[154:155], v[132:133], -v[74:75]
	v_fma_f64 v[193:194], v[50:51], s[12:13], v[147:148]
	scratch_store_b64 off, v[16:17], off offset:180 ; 8-byte Folded Spill
	v_add_f64_e32 v[16:17], v[219:220], v[221:222]
	v_add_f64_e64 v[219:220], v[142:143], -v[138:139]
	scratch_store_b64 off, v[18:19], off offset:148 ; 8-byte Folded Spill
	v_add_f64_e32 v[18:19], v[150:151], v[217:218]
	v_add_f64_e64 v[221:222], v[138:139], -v[94:95]
	v_fma_f64 v[138:139], v[211:212], s[14:15], v[209:210]
	v_add_f64_e64 v[94:95], v[102:103], -v[52:53]
	v_add_f64_e32 v[118:119], v[233:234], v[243:244]
	scratch_store_b64 off, v[16:17], off offset:188 ; 8-byte Folded Spill
	v_dual_mov_b32 v16, v62 :: v_dual_mov_b32 v17, v63
	scratch_store_b64 off, v[18:19], off offset:156 ; 8-byte Folded Spill
	v_add_f64_e32 v[18:19], v[219:220], v[20:21]
	scratch_store_b64 off, v[22:23], off offset:164 ; 8-byte Folded Spill
	v_add_f64_e64 v[219:220], v[161:162], -v[88:89]
	v_add_f64_e64 v[150:151], v[140:141], -v[16:17]
	v_mov_b32_e32 v16, v52
	v_fma_f64 v[161:162], v[211:212], s[12:13], v[209:210]
	v_mov_b32_e32 v17, v53
	v_add_f64_e64 v[225:226], v[134:135], -v[28:29]
	v_add_f64_e64 v[134:135], v[122:123], -v[134:135]
	v_fma_f64 v[122:123], v[124:125], s[14:15], v[76:77]
	v_dual_mov_b32 v22, v74 :: v_dual_mov_b32 v23, v75
	v_add_f64_e64 v[217:218], v[159:160], -v[32:33]
	v_fma_f64 v[140:141], v[185:186], s[12:13], v[213:214]
	v_add_f64_e64 v[213:214], v[142:143], -v[34:35]
	v_fma_f64 v[142:143], v[106:107], s[14:15], v[175:176]
	v_fma_f64 v[159:160], v[106:107], s[12:13], v[175:176]
	v_fma_f64 v[209:210], v[108:109], s[12:13], v[207:208]
	v_fma_f64 v[207:208], v[108:109], s[14:15], v[207:208]
	v_fma_f64 v[237:238], v[108:109], s[6:7], v[138:139]
	v_fma_f64 v[175:176], v[215:216], s[14:15], v[4:5]
	v_add_f64_e64 v[20:21], v[114:115], -v[145:146]
	v_add_f64_e32 v[114:115], v[231:232], v[241:242]
	v_add_f64_e64 v[88:89], v[96:97], -v[98:99]
	v_fma_f64 v[231:232], v[106:107], s[6:7], v[157:158]
	v_fma_f64 v[157:158], v[116:117], s[12:13], v[163:164]
	scratch_store_b64 off, v[18:19], off offset:132 ; 8-byte Folded Spill
	v_add_f64_e32 v[18:19], v[254:255], v[136:137]
	v_add_f64_e32 v[136:137], v[0:1], v[197:198]
	v_fma_f64 v[0:1], v[104:105], s[12:13], v[205:206]
	v_fma_f64 v[205:206], v[104:105], s[14:15], v[205:206]
	;; [unrolled: 1-line block ×5, first 2 shown]
	v_add_f64_e32 v[171:172], v[2:3], v[90:91]
	v_fma_f64 v[108:109], v[110:111], s[2:3], v[122:123]
	v_fma_f64 v[122:123], v[112:113], s[2:3], v[12:13]
	;; [unrolled: 1-line block ×22, first 2 shown]
	v_add_f64_e32 v[12:13], v[223:224], v[248:249]
	v_fma_f64 v[209:210], v[88:89], s[14:15], v[44:45]
	v_add_f64_e32 v[132:133], v[18:19], v[86:87]
	v_fma_f64 v[18:19], v[120:121], s[14:15], v[203:204]
	v_fma_f64 v[26:27], v[120:121], s[2:3], v[0:1]
	;; [unrolled: 1-line block ×4, first 2 shown]
	v_add_f64_e32 v[86:87], v[10:11], v[126:127]
	v_fma_f64 v[10:11], v[110:111], s[14:15], v[201:202]
	v_fma_f64 v[201:202], v[110:111], s[12:13], v[201:202]
	;; [unrolled: 1-line block ×11, first 2 shown]
	v_add_f64_e64 v[205:206], v[90:91], -v[28:29]
	v_add_f64_e32 v[28:29], v[171:172], v[28:29]
	v_fma_f64 v[161:162], v[50:51], s[2:3], v[161:162]
	v_fma_f64 v[177:178], v[150:151], s[2:3], v[70:71]
	;; [unrolled: 1-line block ×37, first 2 shown]
	scratch_load_b32 v151, off, off offset:32 ; 4-byte Folded Reload
	v_add_f64_e32 v[44:45], v[86:87], v[24:25]
	v_fma_f64 v[66:67], v[48:49], s[10:11], v[26:27]
	v_fma_f64 v[8:9], v[94:95], s[2:3], v[209:210]
	v_add_f64_e32 v[26:27], v[80:81], v[16:17]
	v_fma_f64 v[90:91], v[56:57], s[10:11], v[98:99]
	v_fma_f64 v[165:166], v[64:65], s[6:7], v[18:19]
	;; [unrolled: 1-line block ×4, first 2 shown]
	scratch_load_b64 v[0:1], off, off offset:196 th:TH_LOAD_LU ; 8-byte Folded Reload
	v_fma_f64 v[167:168], v[64:65], s[2:3], v[181:182]
	v_fma_f64 v[64:65], v[227:228], s[12:13], v[6:7]
	;; [unrolled: 1-line block ×4, first 2 shown]
	v_add_f64_e32 v[6:7], v[134:135], v[205:206]
	v_fma_f64 v[185:186], v[213:214], s[6:7], v[185:186]
	v_fma_f64 v[213:214], v[42:43], s[10:11], v[229:230]
	;; [unrolled: 1-line block ×4, first 2 shown]
	v_add_f64_e32 v[42:43], v[132:133], v[22:23]
	v_fma_f64 v[52:53], v[58:59], s[10:11], v[124:125]
	v_fma_f64 v[48:49], v[36:37], s[10:11], v[159:160]
	;; [unrolled: 1-line block ×8, first 2 shown]
	v_add_f64_e32 v[14:15], v[136:137], v[145:146]
	v_fma_f64 v[183:184], v[221:222], s[2:3], v[142:143]
	v_fma_f64 v[169:170], v[152:153], s[6:7], v[189:190]
	scratch_load_b32 v152, off, off offset:84 ; 4-byte Folded Reload
	v_fma_f64 v[189:190], v[219:220], s[2:3], v[245:246]
	v_fma_f64 v[221:222], v[46:47], s[10:11], v[235:236]
	;; [unrolled: 1-line block ×5, first 2 shown]
	v_add_f64_e32 v[18:19], v[84:85], v[34:35]
	v_fma_f64 v[80:81], v[114:115], s[10:11], v[78:79]
	v_fma_f64 v[175:176], v[225:226], s[6:7], v[64:65]
	;; [unrolled: 1-line block ×5, first 2 shown]
	scratch_load_b64 v[10:11], off, off offset:172 th:TH_LOAD_LU ; 8-byte Folded Reload
	v_fma_f64 v[114:115], v[118:119], s[10:11], v[173:174]
	v_fma_f64 v[78:79], v[128:129], s[10:11], v[74:75]
	s_wait_loadcnt 0x2
	v_fma_f64 v[68:69], v[0:1], s[10:11], v[104:105]
	v_fma_f64 v[64:65], v[0:1], s[10:11], v[96:97]
	scratch_load_b64 v[0:1], off, off offset:180 th:TH_LOAD_LU ; 8-byte Folded Reload
	s_wait_loadcnt 0x0
	v_fma_f64 v[92:93], v[0:1], s[10:11], v[106:107]
	v_fma_f64 v[104:105], v[0:1], s[10:11], v[108:109]
	scratch_load_b64 v[0:1], off, off offset:188 th:TH_LOAD_LU ; 8-byte Folded Reload
	v_fma_f64 v[108:109], v[60:61], s[10:11], v[138:139]
	v_fma_f64 v[60:61], v[36:37], s[10:11], v[4:5]
	scratch_load_b64 v[4:5], off, off offset:148 th:TH_LOAD_LU ; 8-byte Folded Reload
	v_fma_f64 v[36:37], v[100:101], s[10:11], v[185:186]
	v_fma_f64 v[138:139], v[118:119], s[10:11], v[175:176]
	s_wait_loadcnt 0x1
	v_fma_f64 v[50:51], v[0:1], s[10:11], v[110:111]
	v_fma_f64 v[54:55], v[0:1], s[10:11], v[120:121]
	scratch_load_b64 v[0:1], off, off offset:220 th:TH_LOAD_LU ; 8-byte Folded Reload
	s_wait_loadcnt 0x1
	v_fma_f64 v[126:127], v[4:5], s[10:11], v[197:198]
	v_fma_f64 v[40:41], v[4:5], s[10:11], v[199:200]
	scratch_load_b64 v[4:5], off, off offset:156 th:TH_LOAD_LU ; 8-byte Folded Reload
	s_wait_loadcnt 0x1
	v_fma_f64 v[96:97], v[0:1], s[10:11], v[122:123]
	v_fma_f64 v[106:107], v[0:1], s[10:11], v[112:113]
	;; [unrolled: 1-line block ×3, first 2 shown]
	s_wait_loadcnt 0x0
	v_fma_f64 v[132:133], v[4:5], s[10:11], v[201:202]
	v_fma_f64 v[136:137], v[4:5], s[10:11], v[203:204]
	scratch_load_b64 v[4:5], off, off offset:132 th:TH_LOAD_LU ; 8-byte Folded Reload
	v_fma_f64 v[58:59], v[10:11], s[10:11], v[161:162]
	v_fma_f64 v[46:47], v[10:11], s[10:11], v[116:117]
	scratch_load_b64 v[10:11], off, off offset:164 th:TH_LOAD_LU ; 8-byte Folded Reload
	v_fma_f64 v[122:123], v[38:39], s[10:11], v[167:168]
	v_fma_f64 v[38:39], v[30:31], s[10:11], v[169:170]
	;; [unrolled: 1-line block ×4, first 2 shown]
	s_mov_b32 s2, exec_lo
	s_wait_loadcnt 0x1
	v_fma_f64 v[22:23], v[4:5], s[10:11], v[189:190]
	v_fma_f64 v[30:31], v[4:5], s[10:11], v[191:192]
	scratch_load_b64 v[4:5], off, off offset:140 th:TH_LOAD_LU ; 8-byte Folded Reload
	s_wait_loadcnt 0x0
	v_fma_f64 v[34:35], v[4:5], s[10:11], v[193:194]
	v_fma_f64 v[84:85], v[4:5], s[10:11], v[195:196]
	scratch_load_b64 v[4:5], off, off offset:124 th:TH_LOAD_LU ; 8-byte Folded Reload
	v_fma_f64 v[120:121], v[10:11], s[10:11], v[20:21]
	v_add_f64_e32 v[20:21], v[82:83], v[32:33]
	v_fma_f64 v[82:83], v[128:129], s[10:11], v[0:1]
	global_wb scope:SCOPE_SE
	s_wait_loadcnt 0x0
	s_wait_storecnt 0x0
	s_barrier_signal -1
	s_barrier_wait -1
	global_inv scope:SCOPE_SE
	scratch_load_b128 v[0:3], off, off offset:108 th:TH_LOAD_LU ; 16-byte Folded Reload
	v_fma_f64 v[110:111], v[10:11], s[10:11], v[140:141]
	v_fma_f64 v[140:141], v[6:7], s[10:11], v[8:9]
                                        ; implicit-def: $vgpr10_vgpr11
                                        ; implicit-def: $vgpr8_vgpr9
	s_wait_loadcnt 0x0
	ds_store_b128 v247, v[0:3]
	ds_store_b128 v247, v[213:216] offset:6272
	ds_store_b128 v247, v[217:220] offset:12544
	;; [unrolled: 1-line block ×4, first 2 shown]
	v_fma_f64 v[24:25], v[4:5], s[10:11], v[181:182]
	v_fma_f64 v[32:33], v[4:5], s[10:11], v[183:184]
	scratch_load_b128 v[1:4], off, off offset:204 th:TH_LOAD_LU ; 16-byte Folded Reload
	v_lshl_add_u32 v0, v149, 4, 0
	v_lshl_add_u32 v72, v149, 4, 0
	s_wait_loadcnt 0x0
	ds_store_b128 v0, v[1:4]
	s_clause 0x1
	scratch_load_b32 v71, off, off offset:40
	scratch_load_b32 v70, off, off offset:36
	ds_store_b128 v72, v[66:69] offset:6272
	ds_store_b128 v72, v[90:93] offset:12544
	;; [unrolled: 1-line block ×4, first 2 shown]
	scratch_load_b128 v[0:3], off, off offset:92 th:TH_LOAD_LU ; 16-byte Folded Reload
	s_wait_loadcnt 0x0
	ds_store_b128 v71, v[0:3]
	ds_store_b128 v71, v[50:53] offset:6272
	ds_store_b128 v71, v[96:99] offset:12544
	ds_store_b128 v71, v[106:109] offset:18816
	ds_store_b128 v71, v[54:57] offset:25088
	ds_store_b128 v70, v[12:15]
	ds_store_b128 v70, v[58:61] offset:6272
	ds_store_b128 v70, v[110:113] offset:12544
	ds_store_b128 v70, v[120:123] offset:18816
	ds_store_b128 v70, v[46:49] offset:25088
	;; [unrolled: 5-line block ×3, first 2 shown]
	scratch_load_b32 v0, off, off offset:88 ; 4-byte Folded Reload
                                        ; implicit-def: $vgpr2_vgpr3
	s_wait_loadcnt 0x0
	ds_store_b128 v0, v[18:21]
	ds_store_b128 v0, v[22:25] offset:6272
	ds_store_b128 v0, v[34:37] offset:12544
	;; [unrolled: 1-line block ×4, first 2 shown]
	ds_store_b128 v152, v[26:29]
	ds_store_b128 v152, v[76:79] offset:6272
	ds_store_b128 v152, v[114:117] offset:12544
	;; [unrolled: 1-line block ×4, first 2 shown]
	global_wb scope:SCOPE_SE
	s_wait_dscnt 0x0
	s_barrier_signal -1
	s_barrier_wait -1
	global_inv scope:SCOPE_SE
	ds_load_b128 v[4:7], v247
	v_dual_mov_b32 v25, v0 :: v_dual_lshlrev_b32 v0, 4, v144
	s_delay_alu instid0(VALU_DEP_1)
	v_sub_nc_u32_e32 v12, 0, v0
	v_cmpx_ne_u32_e32 0, v144
	s_wait_alu 0xfffe
	s_xor_b32 s2, exec_lo, s2
	s_cbranch_execz .LBB0_21
; %bb.20:
	v_mov_b32_e32 v145, 0
	s_delay_alu instid0(VALU_DEP_1) | instskip(NEXT) | instid1(VALU_DEP_1)
	v_lshlrev_b64_e32 v[0:1], 4, v[144:145]
	v_add_co_u32 v0, s1, s4, v0
	s_wait_alu 0xf1ff
	s_delay_alu instid0(VALU_DEP_2)
	v_add_co_ci_u32_e64 v1, s1, s5, v1, s1
	global_load_b128 v[8:11], v[0:1], off offset:31296
	ds_load_b128 v[0:3], v12 offset:31360
	s_wait_dscnt 0x0
	v_add_f64_e64 v[13:14], v[4:5], -v[0:1]
	v_add_f64_e32 v[15:16], v[6:7], v[2:3]
	v_add_f64_e64 v[2:3], v[6:7], -v[2:3]
	v_add_f64_e32 v[0:1], v[4:5], v[0:1]
	s_delay_alu instid0(VALU_DEP_4) | instskip(NEXT) | instid1(VALU_DEP_4)
	v_mul_f64_e32 v[6:7], 0.5, v[13:14]
	v_mul_f64_e32 v[4:5], 0.5, v[15:16]
	s_delay_alu instid0(VALU_DEP_4) | instskip(SKIP_1) | instid1(VALU_DEP_3)
	v_mul_f64_e32 v[2:3], 0.5, v[2:3]
	s_wait_loadcnt 0x0
	v_mul_f64_e32 v[13:14], v[6:7], v[10:11]
	s_delay_alu instid0(VALU_DEP_2) | instskip(SKIP_1) | instid1(VALU_DEP_3)
	v_fma_f64 v[15:16], v[4:5], v[10:11], v[2:3]
	v_fma_f64 v[2:3], v[4:5], v[10:11], -v[2:3]
	v_fma_f64 v[17:18], v[0:1], 0.5, v[13:14]
	v_fma_f64 v[0:1], v[0:1], 0.5, -v[13:14]
	s_delay_alu instid0(VALU_DEP_4) | instskip(NEXT) | instid1(VALU_DEP_4)
	v_fma_f64 v[10:11], -v[8:9], v[6:7], v[15:16]
	v_fma_f64 v[2:3], -v[8:9], v[6:7], v[2:3]
	s_delay_alu instid0(VALU_DEP_4) | instskip(NEXT) | instid1(VALU_DEP_4)
	v_fma_f64 v[13:14], v[4:5], v[8:9], v[17:18]
	v_fma_f64 v[0:1], -v[4:5], v[8:9], v[0:1]
	v_dual_mov_b32 v8, v144 :: v_dual_mov_b32 v9, v145
                                        ; implicit-def: $vgpr4_vgpr5
	ds_store_b64 v247, v[13:14]
.LBB0_21:
	s_wait_alu 0xfffe
	s_and_not1_saveexec_b32 s1, s2
	s_cbranch_execz .LBB0_23
; %bb.22:
	s_wait_dscnt 0x0
	v_add_f64_e32 v[13:14], v[4:5], v[6:7]
	v_add_f64_e64 v[0:1], v[4:5], -v[6:7]
	v_mov_b32_e32 v6, 0
	v_mov_b32_e32 v10, 0
	v_dual_mov_b32 v11, 0 :: v_dual_mov_b32 v8, 0
	s_delay_alu instid0(VALU_DEP_2)
	v_mov_b32_e32 v2, v10
	ds_load_b64 v[4:5], v6 offset:15688
	v_mov_b32_e32 v9, 0
	v_mov_b32_e32 v3, v11
	s_wait_dscnt 0x0
	v_xor_b32_e32 v5, 0x80000000, v5
	ds_store_b64 v247, v[13:14]
	ds_store_b64 v6, v[4:5] offset:15688
.LBB0_23:
	s_wait_alu 0xfffe
	s_or_b32 exec_lo, exec_lo, s1
	v_mov_b32_e32 v150, 0
	s_add_nc_u64 s[2:3], s[4:5], 0x7a40
	s_wait_dscnt 0x0
	s_delay_alu instid0(VALU_DEP_1) | instskip(NEXT) | instid1(VALU_DEP_1)
	v_lshlrev_b64_e32 v[4:5], 4, v[149:150]
	v_add_co_u32 v4, s1, s4, v4
	s_wait_alu 0xf1ff
	s_delay_alu instid0(VALU_DEP_2) | instskip(SKIP_4) | instid1(VALU_DEP_1)
	v_add_co_ci_u32_e64 v5, s1, s5, v5, s1
	global_load_b128 v[4:7], v[4:5], off offset:31296
	scratch_load_b64 v[13:14], off, off offset:68 th:TH_LOAD_LU ; 8-byte Folded Reload
	s_wait_loadcnt 0x0
	v_mov_b32_e32 v14, v150
	v_lshlrev_b64_e32 v[13:14], 4, v[13:14]
	s_delay_alu instid0(VALU_DEP_1) | instskip(SKIP_1) | instid1(VALU_DEP_2)
	v_add_co_u32 v13, s1, s4, v13
	s_wait_alu 0xf1ff
	v_add_co_ci_u32_e64 v14, s1, s5, v14, s1
	global_load_b128 v[13:16], v[13:14], off offset:31296
	ds_store_b64 v247, v[10:11] offset:8
	ds_store_b128 v12, v[0:3] offset:31360
	ds_load_b128 v[0:3], v72
	ds_load_b128 v[17:20], v12 offset:30464
	s_wait_dscnt 0x0
	v_add_f64_e64 v[10:11], v[0:1], -v[17:18]
	v_add_f64_e32 v[21:22], v[2:3], v[19:20]
	v_add_f64_e64 v[2:3], v[2:3], -v[19:20]
	v_add_f64_e32 v[0:1], v[0:1], v[17:18]
	s_delay_alu instid0(VALU_DEP_4) | instskip(NEXT) | instid1(VALU_DEP_4)
	v_mul_f64_e32 v[10:11], 0.5, v[10:11]
	v_mul_f64_e32 v[19:20], 0.5, v[21:22]
	s_delay_alu instid0(VALU_DEP_4) | instskip(NEXT) | instid1(VALU_DEP_3)
	v_mul_f64_e32 v[2:3], 0.5, v[2:3]
	v_mul_f64_e32 v[17:18], v[10:11], v[6:7]
	s_delay_alu instid0(VALU_DEP_2) | instskip(SKIP_1) | instid1(VALU_DEP_3)
	v_fma_f64 v[21:22], v[19:20], v[6:7], v[2:3]
	v_fma_f64 v[6:7], v[19:20], v[6:7], -v[2:3]
	v_fma_f64 v[23:24], v[0:1], 0.5, v[17:18]
	v_fma_f64 v[17:18], v[0:1], 0.5, -v[17:18]
	s_delay_alu instid0(VALU_DEP_4) | instskip(NEXT) | instid1(VALU_DEP_4)
	v_fma_f64 v[2:3], -v[4:5], v[10:11], v[21:22]
	v_fma_f64 v[6:7], -v[4:5], v[10:11], v[6:7]
	scratch_load_b64 v[10:11], off, off offset:60 th:TH_LOAD_LU ; 8-byte Folded Reload
	s_wait_loadcnt 0x0
	v_mov_b32_e32 v11, v150
	v_fma_f64 v[0:1], v[19:20], v[4:5], v[23:24]
	v_fma_f64 v[4:5], -v[19:20], v[4:5], v[17:18]
	s_delay_alu instid0(VALU_DEP_3) | instskip(NEXT) | instid1(VALU_DEP_1)
	v_lshlrev_b64_e32 v[10:11], 4, v[10:11]
	v_add_co_u32 v10, s1, s4, v10
	s_wait_alu 0xf1ff
	s_delay_alu instid0(VALU_DEP_2)
	v_add_co_ci_u32_e64 v11, s1, s5, v11, s1
	global_load_b128 v[17:20], v[10:11], off offset:31296
	ds_store_b128 v72, v[0:3]
	ds_store_b128 v12, v[4:7] offset:30464
	ds_load_b128 v[0:3], v71
	ds_load_b128 v[4:7], v12 offset:29568
	s_wait_dscnt 0x0
	v_add_f64_e64 v[10:11], v[0:1], -v[4:5]
	v_add_f64_e32 v[21:22], v[2:3], v[6:7]
	v_add_f64_e64 v[2:3], v[2:3], -v[6:7]
	v_add_f64_e32 v[0:1], v[0:1], v[4:5]
	s_delay_alu instid0(VALU_DEP_4) | instskip(NEXT) | instid1(VALU_DEP_4)
	v_mul_f64_e32 v[6:7], 0.5, v[10:11]
	v_mul_f64_e32 v[10:11], 0.5, v[21:22]
	s_delay_alu instid0(VALU_DEP_4) | instskip(NEXT) | instid1(VALU_DEP_3)
	v_mul_f64_e32 v[2:3], 0.5, v[2:3]
	v_mul_f64_e32 v[4:5], v[6:7], v[15:16]
	s_delay_alu instid0(VALU_DEP_2) | instskip(SKIP_1) | instid1(VALU_DEP_3)
	v_fma_f64 v[21:22], v[10:11], v[15:16], v[2:3]
	v_fma_f64 v[15:16], v[10:11], v[15:16], -v[2:3]
	v_fma_f64 v[23:24], v[0:1], 0.5, v[4:5]
	v_fma_f64 v[4:5], v[0:1], 0.5, -v[4:5]
	s_delay_alu instid0(VALU_DEP_4) | instskip(NEXT) | instid1(VALU_DEP_4)
	v_fma_f64 v[2:3], -v[13:14], v[6:7], v[21:22]
	v_fma_f64 v[6:7], -v[13:14], v[6:7], v[15:16]
	s_delay_alu instid0(VALU_DEP_4) | instskip(NEXT) | instid1(VALU_DEP_4)
	v_fma_f64 v[0:1], v[10:11], v[13:14], v[23:24]
	v_fma_f64 v[4:5], -v[10:11], v[13:14], v[4:5]
	scratch_load_b64 v[10:11], off, off offset:52 th:TH_LOAD_LU ; 8-byte Folded Reload
	s_wait_loadcnt 0x0
	v_mov_b32_e32 v11, v150
	s_delay_alu instid0(VALU_DEP_1) | instskip(NEXT) | instid1(VALU_DEP_1)
	v_lshlrev_b64_e32 v[10:11], 4, v[10:11]
	v_add_co_u32 v10, s1, s4, v10
	s_wait_alu 0xf1ff
	s_delay_alu instid0(VALU_DEP_2)
	v_add_co_ci_u32_e64 v11, s1, s5, v11, s1
	global_load_b128 v[13:16], v[10:11], off offset:31296
	ds_store_b128 v71, v[0:3]
	ds_store_b128 v12, v[4:7] offset:29568
	ds_load_b128 v[0:3], v70
	ds_load_b128 v[4:7], v12 offset:28672
	s_wait_dscnt 0x0
	v_add_f64_e64 v[10:11], v[0:1], -v[4:5]
	v_add_f64_e32 v[21:22], v[2:3], v[6:7]
	v_add_f64_e64 v[2:3], v[2:3], -v[6:7]
	v_add_f64_e32 v[0:1], v[0:1], v[4:5]
	s_delay_alu instid0(VALU_DEP_4) | instskip(NEXT) | instid1(VALU_DEP_4)
	v_mul_f64_e32 v[6:7], 0.5, v[10:11]
	v_mul_f64_e32 v[10:11], 0.5, v[21:22]
	s_delay_alu instid0(VALU_DEP_4) | instskip(NEXT) | instid1(VALU_DEP_3)
	v_mul_f64_e32 v[2:3], 0.5, v[2:3]
	v_mul_f64_e32 v[4:5], v[6:7], v[19:20]
	s_delay_alu instid0(VALU_DEP_2) | instskip(SKIP_1) | instid1(VALU_DEP_3)
	v_fma_f64 v[21:22], v[10:11], v[19:20], v[2:3]
	v_fma_f64 v[19:20], v[10:11], v[19:20], -v[2:3]
	v_fma_f64 v[23:24], v[0:1], 0.5, v[4:5]
	v_fma_f64 v[4:5], v[0:1], 0.5, -v[4:5]
	s_delay_alu instid0(VALU_DEP_4) | instskip(NEXT) | instid1(VALU_DEP_4)
	v_fma_f64 v[2:3], -v[17:18], v[6:7], v[21:22]
	v_fma_f64 v[6:7], -v[17:18], v[6:7], v[19:20]
	s_delay_alu instid0(VALU_DEP_4) | instskip(NEXT) | instid1(VALU_DEP_4)
	v_fma_f64 v[0:1], v[10:11], v[17:18], v[23:24]
	v_fma_f64 v[4:5], -v[10:11], v[17:18], v[4:5]
	scratch_load_b64 v[10:11], off, off offset:16 th:TH_LOAD_LU ; 8-byte Folded Reload
	s_wait_loadcnt 0x0
	v_mov_b32_e32 v11, v150
	s_delay_alu instid0(VALU_DEP_1) | instskip(NEXT) | instid1(VALU_DEP_1)
	;; [unrolled: 36-line block ×3, first 2 shown]
	v_lshlrev_b64_e32 v[10:11], 4, v[10:11]
	v_add_co_u32 v10, s1, s4, v10
	s_wait_alu 0xf1ff
	s_delay_alu instid0(VALU_DEP_2)
	v_add_co_ci_u32_e64 v11, s1, s5, v11, s1
	global_load_b128 v[13:16], v[10:11], off offset:31296
	ds_store_b128 v151, v[0:3]
	ds_store_b128 v12, v[4:7] offset:27776
	ds_load_b128 v[0:3], v25
	ds_load_b128 v[4:7], v12 offset:26880
	s_wait_dscnt 0x0
	v_add_f64_e64 v[10:11], v[0:1], -v[4:5]
	v_add_f64_e32 v[21:22], v[2:3], v[6:7]
	v_add_f64_e64 v[2:3], v[2:3], -v[6:7]
	v_add_f64_e32 v[0:1], v[0:1], v[4:5]
	s_delay_alu instid0(VALU_DEP_4) | instskip(NEXT) | instid1(VALU_DEP_4)
	v_mul_f64_e32 v[6:7], 0.5, v[10:11]
	v_mul_f64_e32 v[10:11], 0.5, v[21:22]
	s_delay_alu instid0(VALU_DEP_4) | instskip(NEXT) | instid1(VALU_DEP_3)
	v_mul_f64_e32 v[2:3], 0.5, v[2:3]
	v_mul_f64_e32 v[4:5], v[6:7], v[19:20]
	s_delay_alu instid0(VALU_DEP_2) | instskip(SKIP_1) | instid1(VALU_DEP_3)
	v_fma_f64 v[21:22], v[10:11], v[19:20], v[2:3]
	v_fma_f64 v[19:20], v[10:11], v[19:20], -v[2:3]
	v_fma_f64 v[23:24], v[0:1], 0.5, v[4:5]
	v_fma_f64 v[4:5], v[0:1], 0.5, -v[4:5]
	s_delay_alu instid0(VALU_DEP_4) | instskip(NEXT) | instid1(VALU_DEP_4)
	v_fma_f64 v[2:3], -v[17:18], v[6:7], v[21:22]
	v_fma_f64 v[6:7], -v[17:18], v[6:7], v[19:20]
	s_delay_alu instid0(VALU_DEP_4) | instskip(NEXT) | instid1(VALU_DEP_4)
	v_fma_f64 v[0:1], v[10:11], v[17:18], v[23:24]
	v_fma_f64 v[4:5], -v[10:11], v[17:18], v[4:5]
	scratch_load_b64 v[10:11], off, off th:TH_LOAD_LU ; 8-byte Folded Reload
	s_wait_loadcnt 0x0
	v_mov_b32_e32 v11, v150
	s_delay_alu instid0(VALU_DEP_1) | instskip(NEXT) | instid1(VALU_DEP_1)
	v_lshlrev_b64_e32 v[10:11], 4, v[10:11]
	v_add_co_u32 v10, s1, s4, v10
	s_wait_alu 0xf1ff
	s_delay_alu instid0(VALU_DEP_2)
	v_add_co_ci_u32_e64 v11, s1, s5, v11, s1
	global_load_b128 v[17:20], v[10:11], off offset:31296
	ds_store_b128 v25, v[0:3]
	ds_store_b128 v12, v[4:7] offset:26880
	ds_load_b128 v[0:3], v152
	ds_load_b128 v[4:7], v12 offset:25984
	s_wait_dscnt 0x0
	v_add_f64_e64 v[10:11], v[0:1], -v[4:5]
	v_add_f64_e32 v[21:22], v[2:3], v[6:7]
	v_add_f64_e64 v[2:3], v[2:3], -v[6:7]
	v_add_f64_e32 v[0:1], v[0:1], v[4:5]
	s_delay_alu instid0(VALU_DEP_4) | instskip(NEXT) | instid1(VALU_DEP_4)
	v_mul_f64_e32 v[6:7], 0.5, v[10:11]
	v_mul_f64_e32 v[10:11], 0.5, v[21:22]
	s_delay_alu instid0(VALU_DEP_4) | instskip(NEXT) | instid1(VALU_DEP_3)
	v_mul_f64_e32 v[2:3], 0.5, v[2:3]
	v_mul_f64_e32 v[4:5], v[6:7], v[15:16]
	s_delay_alu instid0(VALU_DEP_2) | instskip(SKIP_1) | instid1(VALU_DEP_3)
	v_fma_f64 v[21:22], v[10:11], v[15:16], v[2:3]
	v_fma_f64 v[15:16], v[10:11], v[15:16], -v[2:3]
	v_fma_f64 v[23:24], v[0:1], 0.5, v[4:5]
	v_fma_f64 v[4:5], v[0:1], 0.5, -v[4:5]
	s_delay_alu instid0(VALU_DEP_4) | instskip(NEXT) | instid1(VALU_DEP_4)
	v_fma_f64 v[2:3], -v[13:14], v[6:7], v[21:22]
	v_fma_f64 v[6:7], -v[13:14], v[6:7], v[15:16]
	s_delay_alu instid0(VALU_DEP_4) | instskip(NEXT) | instid1(VALU_DEP_4)
	v_fma_f64 v[0:1], v[10:11], v[13:14], v[23:24]
	v_fma_f64 v[4:5], -v[10:11], v[13:14], v[4:5]
	scratch_load_b64 v[10:11], off, off offset:24 th:TH_LOAD_LU ; 8-byte Folded Reload
	s_wait_loadcnt 0x0
	v_mov_b32_e32 v149, v10
	s_delay_alu instid0(VALU_DEP_1) | instskip(NEXT) | instid1(VALU_DEP_1)
	v_lshlrev_b64_e32 v[10:11], 4, v[149:150]
	v_add_co_u32 v10, s1, s4, v10
	s_wait_alu 0xf1ff
	s_delay_alu instid0(VALU_DEP_2)
	v_add_co_ci_u32_e64 v11, s1, s5, v11, s1
	global_load_b128 v[13:16], v[10:11], off offset:31296
	ds_store_b128 v152, v[0:3]
	ds_store_b128 v12, v[4:7] offset:25984
	scratch_load_b32 v25, off, off offset:80 th:TH_LOAD_LU ; 4-byte Folded Reload
	s_wait_loadcnt 0x0
	ds_load_b128 v[0:3], v25
	ds_load_b128 v[4:7], v12 offset:25088
	s_wait_dscnt 0x0
	v_add_f64_e64 v[10:11], v[0:1], -v[4:5]
	v_add_f64_e32 v[21:22], v[2:3], v[6:7]
	v_add_f64_e64 v[2:3], v[2:3], -v[6:7]
	v_add_f64_e32 v[0:1], v[0:1], v[4:5]
	s_delay_alu instid0(VALU_DEP_4) | instskip(NEXT) | instid1(VALU_DEP_4)
	v_mul_f64_e32 v[10:11], 0.5, v[10:11]
	v_mul_f64_e32 v[21:22], 0.5, v[21:22]
	s_delay_alu instid0(VALU_DEP_4) | instskip(NEXT) | instid1(VALU_DEP_3)
	v_mul_f64_e32 v[2:3], 0.5, v[2:3]
	v_mul_f64_e32 v[4:5], v[10:11], v[19:20]
	s_delay_alu instid0(VALU_DEP_2) | instskip(SKIP_1) | instid1(VALU_DEP_3)
	v_fma_f64 v[6:7], v[21:22], v[19:20], v[2:3]
	v_fma_f64 v[2:3], v[21:22], v[19:20], -v[2:3]
	v_fma_f64 v[23:24], v[0:1], 0.5, v[4:5]
	v_fma_f64 v[0:1], v[0:1], 0.5, -v[4:5]
	s_delay_alu instid0(VALU_DEP_4) | instskip(NEXT) | instid1(VALU_DEP_4)
	v_fma_f64 v[6:7], -v[17:18], v[10:11], v[6:7]
	v_fma_f64 v[19:20], -v[17:18], v[10:11], v[2:3]
	s_delay_alu instid0(VALU_DEP_4) | instskip(NEXT) | instid1(VALU_DEP_4)
	v_fma_f64 v[4:5], v[21:22], v[17:18], v[23:24]
	v_fma_f64 v[17:18], -v[21:22], v[17:18], v[0:1]
	v_lshlrev_b64_e32 v[0:1], 4, v[8:9]
	s_wait_alu 0xfffe
	s_delay_alu instid0(VALU_DEP_1) | instskip(SKIP_1) | instid1(VALU_DEP_2)
	v_add_co_u32 v2, s1, s2, v0
	s_wait_alu 0xf1ff
	v_add_co_ci_u32_e64 v3, s1, s3, v1, s1
	global_load_b128 v[8:11], v[2:3], off offset:8064
	ds_store_b128 v25, v[4:7]
	ds_store_b128 v12, v[17:20] offset:25088
	scratch_load_b32 v27, off, off offset:76 th:TH_LOAD_LU ; 4-byte Folded Reload
	s_wait_loadcnt 0x0
	ds_load_b128 v[4:7], v27
	ds_load_b128 v[17:20], v12 offset:24192
	s_wait_dscnt 0x0
	v_add_f64_e64 v[21:22], v[4:5], -v[17:18]
	v_add_f64_e32 v[23:24], v[6:7], v[19:20]
	v_add_f64_e64 v[6:7], v[6:7], -v[19:20]
	v_add_f64_e32 v[4:5], v[4:5], v[17:18]
	s_delay_alu instid0(VALU_DEP_4) | instskip(NEXT) | instid1(VALU_DEP_4)
	v_mul_f64_e32 v[19:20], 0.5, v[21:22]
	v_mul_f64_e32 v[21:22], 0.5, v[23:24]
	s_delay_alu instid0(VALU_DEP_4) | instskip(NEXT) | instid1(VALU_DEP_3)
	v_mul_f64_e32 v[6:7], 0.5, v[6:7]
	v_mul_f64_e32 v[17:18], v[19:20], v[15:16]
	s_delay_alu instid0(VALU_DEP_2) | instskip(SKIP_1) | instid1(VALU_DEP_3)
	v_fma_f64 v[23:24], v[21:22], v[15:16], v[6:7]
	v_fma_f64 v[15:16], v[21:22], v[15:16], -v[6:7]
	v_fma_f64 v[25:26], v[4:5], 0.5, v[17:18]
	v_fma_f64 v[17:18], v[4:5], 0.5, -v[17:18]
	s_delay_alu instid0(VALU_DEP_4) | instskip(NEXT) | instid1(VALU_DEP_4)
	v_fma_f64 v[6:7], -v[13:14], v[19:20], v[23:24]
	v_fma_f64 v[15:16], -v[13:14], v[19:20], v[15:16]
	s_delay_alu instid0(VALU_DEP_4) | instskip(NEXT) | instid1(VALU_DEP_4)
	v_fma_f64 v[4:5], v[21:22], v[13:14], v[25:26]
	v_fma_f64 v[13:14], -v[21:22], v[13:14], v[17:18]
	global_load_b128 v[17:20], v[2:3], off offset:8960
	ds_store_b128 v27, v[4:7]
	ds_store_b128 v12, v[13:16] offset:24192
	ds_load_b128 v[4:7], v247 offset:8064
	ds_load_b128 v[13:16], v12 offset:23296
	s_wait_dscnt 0x0
	v_add_f64_e64 v[21:22], v[4:5], -v[13:14]
	v_add_f64_e32 v[23:24], v[6:7], v[15:16]
	v_add_f64_e64 v[6:7], v[6:7], -v[15:16]
	v_add_f64_e32 v[4:5], v[4:5], v[13:14]
	s_delay_alu instid0(VALU_DEP_4) | instskip(NEXT) | instid1(VALU_DEP_4)
	v_mul_f64_e32 v[15:16], 0.5, v[21:22]
	v_mul_f64_e32 v[21:22], 0.5, v[23:24]
	s_delay_alu instid0(VALU_DEP_4) | instskip(NEXT) | instid1(VALU_DEP_3)
	v_mul_f64_e32 v[6:7], 0.5, v[6:7]
	v_mul_f64_e32 v[13:14], v[15:16], v[10:11]
	s_delay_alu instid0(VALU_DEP_2) | instskip(SKIP_1) | instid1(VALU_DEP_3)
	v_fma_f64 v[23:24], v[21:22], v[10:11], v[6:7]
	v_fma_f64 v[10:11], v[21:22], v[10:11], -v[6:7]
	v_fma_f64 v[25:26], v[4:5], 0.5, v[13:14]
	v_fma_f64 v[13:14], v[4:5], 0.5, -v[13:14]
	s_delay_alu instid0(VALU_DEP_4) | instskip(NEXT) | instid1(VALU_DEP_4)
	v_fma_f64 v[6:7], -v[8:9], v[15:16], v[23:24]
	v_fma_f64 v[10:11], -v[8:9], v[15:16], v[10:11]
	s_delay_alu instid0(VALU_DEP_4) | instskip(NEXT) | instid1(VALU_DEP_4)
	v_fma_f64 v[4:5], v[21:22], v[8:9], v[25:26]
	v_fma_f64 v[8:9], -v[21:22], v[8:9], v[13:14]
	global_load_b128 v[13:16], v[2:3], off offset:9856
	ds_store_b128 v247, v[4:7] offset:8064
	ds_store_b128 v12, v[8:11] offset:23296
	ds_load_b128 v[4:7], v247 offset:8960
	ds_load_b128 v[8:11], v12 offset:22400
	s_wait_dscnt 0x0
	v_add_f64_e64 v[21:22], v[4:5], -v[8:9]
	v_add_f64_e32 v[23:24], v[6:7], v[10:11]
	v_add_f64_e64 v[6:7], v[6:7], -v[10:11]
	v_add_f64_e32 v[4:5], v[4:5], v[8:9]
	s_delay_alu instid0(VALU_DEP_4) | instskip(NEXT) | instid1(VALU_DEP_4)
	v_mul_f64_e32 v[10:11], 0.5, v[21:22]
	v_mul_f64_e32 v[21:22], 0.5, v[23:24]
	s_delay_alu instid0(VALU_DEP_4) | instskip(SKIP_1) | instid1(VALU_DEP_3)
	v_mul_f64_e32 v[6:7], 0.5, v[6:7]
	s_wait_loadcnt 0x1
	v_mul_f64_e32 v[8:9], v[10:11], v[19:20]
	s_delay_alu instid0(VALU_DEP_2) | instskip(SKIP_1) | instid1(VALU_DEP_3)
	v_fma_f64 v[23:24], v[21:22], v[19:20], v[6:7]
	v_fma_f64 v[19:20], v[21:22], v[19:20], -v[6:7]
	v_fma_f64 v[25:26], v[4:5], 0.5, v[8:9]
	v_fma_f64 v[8:9], v[4:5], 0.5, -v[8:9]
	s_delay_alu instid0(VALU_DEP_4) | instskip(NEXT) | instid1(VALU_DEP_4)
	v_fma_f64 v[6:7], -v[17:18], v[10:11], v[23:24]
	v_fma_f64 v[10:11], -v[17:18], v[10:11], v[19:20]
	s_delay_alu instid0(VALU_DEP_4) | instskip(NEXT) | instid1(VALU_DEP_4)
	v_fma_f64 v[4:5], v[21:22], v[17:18], v[25:26]
	v_fma_f64 v[8:9], -v[21:22], v[17:18], v[8:9]
	global_load_b128 v[17:20], v[2:3], off offset:10752
	ds_store_b128 v247, v[4:7] offset:8960
	ds_store_b128 v12, v[8:11] offset:22400
	ds_load_b128 v[4:7], v247 offset:9856
	ds_load_b128 v[8:11], v12 offset:21504
	s_wait_dscnt 0x0
	v_add_f64_e64 v[21:22], v[4:5], -v[8:9]
	v_add_f64_e32 v[23:24], v[6:7], v[10:11]
	v_add_f64_e64 v[6:7], v[6:7], -v[10:11]
	v_add_f64_e32 v[4:5], v[4:5], v[8:9]
	s_delay_alu instid0(VALU_DEP_4) | instskip(NEXT) | instid1(VALU_DEP_4)
	v_mul_f64_e32 v[10:11], 0.5, v[21:22]
	v_mul_f64_e32 v[21:22], 0.5, v[23:24]
	s_delay_alu instid0(VALU_DEP_4) | instskip(SKIP_1) | instid1(VALU_DEP_3)
	v_mul_f64_e32 v[6:7], 0.5, v[6:7]
	s_wait_loadcnt 0x1
	;; [unrolled: 28-line block ×6, first 2 shown]
	v_mul_f64_e32 v[8:9], v[10:11], v[15:16]
	s_delay_alu instid0(VALU_DEP_2) | instskip(SKIP_1) | instid1(VALU_DEP_3)
	v_fma_f64 v[23:24], v[21:22], v[15:16], v[6:7]
	v_fma_f64 v[15:16], v[21:22], v[15:16], -v[6:7]
	v_fma_f64 v[25:26], v[4:5], 0.5, v[8:9]
	v_fma_f64 v[8:9], v[4:5], 0.5, -v[8:9]
	s_delay_alu instid0(VALU_DEP_4) | instskip(NEXT) | instid1(VALU_DEP_4)
	v_fma_f64 v[6:7], -v[13:14], v[10:11], v[23:24]
	v_fma_f64 v[10:11], -v[13:14], v[10:11], v[15:16]
	s_delay_alu instid0(VALU_DEP_4) | instskip(NEXT) | instid1(VALU_DEP_4)
	v_fma_f64 v[4:5], v[21:22], v[13:14], v[25:26]
	v_fma_f64 v[8:9], -v[21:22], v[13:14], v[8:9]
	ds_store_b128 v247, v[4:7] offset:13440
	ds_store_b128 v12, v[8:11] offset:17920
	ds_load_b128 v[4:7], v247 offset:14336
	ds_load_b128 v[8:11], v12 offset:17024
	s_wait_dscnt 0x0
	v_add_f64_e64 v[13:14], v[4:5], -v[8:9]
	v_add_f64_e32 v[15:16], v[6:7], v[10:11]
	v_add_f64_e64 v[6:7], v[6:7], -v[10:11]
	v_add_f64_e32 v[4:5], v[4:5], v[8:9]
	s_delay_alu instid0(VALU_DEP_4) | instskip(NEXT) | instid1(VALU_DEP_4)
	v_mul_f64_e32 v[10:11], 0.5, v[13:14]
	v_mul_f64_e32 v[13:14], 0.5, v[15:16]
	s_delay_alu instid0(VALU_DEP_4) | instskip(SKIP_1) | instid1(VALU_DEP_3)
	v_mul_f64_e32 v[6:7], 0.5, v[6:7]
	s_wait_loadcnt 0x0
	v_mul_f64_e32 v[8:9], v[10:11], v[19:20]
	s_delay_alu instid0(VALU_DEP_2) | instskip(SKIP_1) | instid1(VALU_DEP_3)
	v_fma_f64 v[15:16], v[13:14], v[19:20], v[6:7]
	v_fma_f64 v[19:20], v[13:14], v[19:20], -v[6:7]
	v_fma_f64 v[21:22], v[4:5], 0.5, v[8:9]
	v_fma_f64 v[8:9], v[4:5], 0.5, -v[8:9]
	s_delay_alu instid0(VALU_DEP_4) | instskip(NEXT) | instid1(VALU_DEP_4)
	v_fma_f64 v[6:7], -v[17:18], v[10:11], v[15:16]
	v_fma_f64 v[10:11], -v[17:18], v[10:11], v[19:20]
	s_delay_alu instid0(VALU_DEP_4) | instskip(NEXT) | instid1(VALU_DEP_4)
	v_fma_f64 v[4:5], v[13:14], v[17:18], v[21:22]
	v_fma_f64 v[8:9], -v[13:14], v[17:18], v[8:9]
	ds_store_b128 v247, v[4:7] offset:14336
	ds_store_b128 v12, v[8:11] offset:17024
	s_and_saveexec_b32 s1, s0
	s_cbranch_execz .LBB0_25
; %bb.24:
	global_load_b128 v[2:5], v[2:3], off offset:15232
	ds_load_b128 v[6:9], v247 offset:15232
	ds_load_b128 v[13:16], v12 offset:16128
	s_wait_dscnt 0x0
	v_add_f64_e64 v[10:11], v[6:7], -v[13:14]
	v_add_f64_e32 v[17:18], v[8:9], v[15:16]
	v_add_f64_e64 v[8:9], v[8:9], -v[15:16]
	v_add_f64_e32 v[6:7], v[6:7], v[13:14]
	s_delay_alu instid0(VALU_DEP_4) | instskip(NEXT) | instid1(VALU_DEP_4)
	v_mul_f64_e32 v[10:11], 0.5, v[10:11]
	v_mul_f64_e32 v[15:16], 0.5, v[17:18]
	s_delay_alu instid0(VALU_DEP_4) | instskip(SKIP_1) | instid1(VALU_DEP_3)
	v_mul_f64_e32 v[8:9], 0.5, v[8:9]
	s_wait_loadcnt 0x0
	v_mul_f64_e32 v[13:14], v[10:11], v[4:5]
	s_delay_alu instid0(VALU_DEP_2) | instskip(SKIP_1) | instid1(VALU_DEP_3)
	v_fma_f64 v[17:18], v[15:16], v[4:5], v[8:9]
	v_fma_f64 v[4:5], v[15:16], v[4:5], -v[8:9]
	v_fma_f64 v[8:9], v[6:7], 0.5, v[13:14]
	v_fma_f64 v[13:14], v[6:7], 0.5, -v[13:14]
	s_delay_alu instid0(VALU_DEP_4) | instskip(NEXT) | instid1(VALU_DEP_4)
	v_fma_f64 v[6:7], -v[2:3], v[10:11], v[17:18]
	v_fma_f64 v[10:11], -v[2:3], v[10:11], v[4:5]
	s_delay_alu instid0(VALU_DEP_4) | instskip(NEXT) | instid1(VALU_DEP_4)
	v_fma_f64 v[4:5], v[15:16], v[2:3], v[8:9]
	v_fma_f64 v[8:9], -v[15:16], v[2:3], v[13:14]
	ds_store_b128 v247, v[4:7] offset:15232
	ds_store_b128 v12, v[8:11] offset:16128
.LBB0_25:
	s_wait_alu 0xfffe
	s_or_b32 exec_lo, exec_lo, s1
	global_wb scope:SCOPE_SE
	s_wait_dscnt 0x0
	s_barrier_signal -1
	s_barrier_wait -1
	global_inv scope:SCOPE_SE
	s_and_saveexec_b32 s0, vcc_lo
	s_cbranch_execz .LBB0_28
; %bb.26:
	scratch_load_b64 v[2:3], off, off offset:44 th:TH_LOAD_LU ; 8-byte Folded Reload
	ds_load_b128 v[4:7], v247
	ds_load_b128 v[8:11], v247 offset:896
	ds_load_b128 v[12:15], v247 offset:1792
	;; [unrolled: 1-line block ×13, first 2 shown]
	s_wait_loadcnt 0x0
	v_add_co_u32 v2, vcc_lo, s8, v2
	s_wait_alu 0xfffd
	v_add_co_ci_u32_e32 v3, vcc_lo, s9, v3, vcc_lo
	s_delay_alu instid0(VALU_DEP_2) | instskip(SKIP_1) | instid1(VALU_DEP_2)
	v_add_co_u32 v0, vcc_lo, v2, v0
	s_wait_alu 0xfffd
	v_add_co_ci_u32_e32 v1, vcc_lo, v3, v1, vcc_lo
	v_cmp_eq_u32_e32 vcc_lo, 55, v144
	s_wait_dscnt 0xd
	global_store_b128 v[0:1], v[4:7], off
	s_wait_dscnt 0xc
	global_store_b128 v[0:1], v[8:11], off offset:896
	s_wait_dscnt 0xb
	global_store_b128 v[0:1], v[12:15], off offset:1792
	;; [unrolled: 2-line block ×9, first 2 shown]
	ds_load_b128 v[4:7], v247 offset:12544
	ds_load_b128 v[8:11], v247 offset:13440
	s_wait_dscnt 0x5
	global_store_b128 v[0:1], v[44:47], off offset:8960
	s_wait_dscnt 0x4
	global_store_b128 v[0:1], v[48:51], off offset:9856
	;; [unrolled: 2-line block ×4, first 2 shown]
	ds_load_b128 v[12:15], v247 offset:14336
	ds_load_b128 v[16:19], v247 offset:15232
	;; [unrolled: 1-line block ×14, first 2 shown]
	s_wait_dscnt 0xf
	global_store_b128 v[0:1], v[4:7], off offset:12544
	s_wait_dscnt 0xe
	global_store_b128 v[0:1], v[8:11], off offset:13440
	ds_load_b128 v[4:7], v247 offset:26880
	ds_load_b128 v[8:11], v247 offset:27776
	;; [unrolled: 1-line block ×5, first 2 shown]
	s_wait_dscnt 0x12
	global_store_b128 v[0:1], v[12:15], off offset:14336
	s_wait_dscnt 0x11
	global_store_b128 v[0:1], v[16:19], off offset:15232
	;; [unrolled: 2-line block ×19, first 2 shown]
	s_and_b32 exec_lo, exec_lo, vcc_lo
	s_cbranch_execz .LBB0_28
; %bb.27:
	v_mov_b32_e32 v0, 0
	ds_load_b128 v[4:7], v0 offset:31360
	s_wait_dscnt 0x0
	global_store_b128 v[2:3], v[4:7], off offset:31360
.LBB0_28:
	s_nop 0
	s_sendmsg sendmsg(MSG_DEALLOC_VGPRS)
	s_endpgm
	.section	.rodata,"a",@progbits
	.p2align	6, 0x0
	.amdhsa_kernel fft_rtc_back_len1960_factors_4_7_2_7_5_wgs_56_tpt_56_halfLds_dp_ip_CI_unitstride_sbrr_R2C_dirReg
		.amdhsa_group_segment_fixed_size 0
		.amdhsa_private_segment_fixed_size 232
		.amdhsa_kernarg_size 88
		.amdhsa_user_sgpr_count 2
		.amdhsa_user_sgpr_dispatch_ptr 0
		.amdhsa_user_sgpr_queue_ptr 0
		.amdhsa_user_sgpr_kernarg_segment_ptr 1
		.amdhsa_user_sgpr_dispatch_id 0
		.amdhsa_user_sgpr_private_segment_size 0
		.amdhsa_wavefront_size32 1
		.amdhsa_uses_dynamic_stack 0
		.amdhsa_enable_private_segment 1
		.amdhsa_system_sgpr_workgroup_id_x 1
		.amdhsa_system_sgpr_workgroup_id_y 0
		.amdhsa_system_sgpr_workgroup_id_z 0
		.amdhsa_system_sgpr_workgroup_info 0
		.amdhsa_system_vgpr_workitem_id 0
		.amdhsa_next_free_vgpr 256
		.amdhsa_next_free_sgpr 32
		.amdhsa_reserve_vcc 1
		.amdhsa_float_round_mode_32 0
		.amdhsa_float_round_mode_16_64 0
		.amdhsa_float_denorm_mode_32 3
		.amdhsa_float_denorm_mode_16_64 3
		.amdhsa_fp16_overflow 0
		.amdhsa_workgroup_processor_mode 1
		.amdhsa_memory_ordered 1
		.amdhsa_forward_progress 0
		.amdhsa_round_robin_scheduling 0
		.amdhsa_exception_fp_ieee_invalid_op 0
		.amdhsa_exception_fp_denorm_src 0
		.amdhsa_exception_fp_ieee_div_zero 0
		.amdhsa_exception_fp_ieee_overflow 0
		.amdhsa_exception_fp_ieee_underflow 0
		.amdhsa_exception_fp_ieee_inexact 0
		.amdhsa_exception_int_div_zero 0
	.end_amdhsa_kernel
	.text
.Lfunc_end0:
	.size	fft_rtc_back_len1960_factors_4_7_2_7_5_wgs_56_tpt_56_halfLds_dp_ip_CI_unitstride_sbrr_R2C_dirReg, .Lfunc_end0-fft_rtc_back_len1960_factors_4_7_2_7_5_wgs_56_tpt_56_halfLds_dp_ip_CI_unitstride_sbrr_R2C_dirReg
                                        ; -- End function
	.section	.AMDGPU.csdata,"",@progbits
; Kernel info:
; codeLenInByte = 27900
; NumSgprs: 34
; NumVgprs: 256
; ScratchSize: 232
; MemoryBound: 0
; FloatMode: 240
; IeeeMode: 1
; LDSByteSize: 0 bytes/workgroup (compile time only)
; SGPRBlocks: 4
; VGPRBlocks: 31
; NumSGPRsForWavesPerEU: 34
; NumVGPRsForWavesPerEU: 256
; Occupancy: 5
; WaveLimiterHint : 1
; COMPUTE_PGM_RSRC2:SCRATCH_EN: 1
; COMPUTE_PGM_RSRC2:USER_SGPR: 2
; COMPUTE_PGM_RSRC2:TRAP_HANDLER: 0
; COMPUTE_PGM_RSRC2:TGID_X_EN: 1
; COMPUTE_PGM_RSRC2:TGID_Y_EN: 0
; COMPUTE_PGM_RSRC2:TGID_Z_EN: 0
; COMPUTE_PGM_RSRC2:TIDIG_COMP_CNT: 0
	.text
	.p2alignl 7, 3214868480
	.fill 96, 4, 3214868480
	.type	__hip_cuid_fb3c93efb23b5c3f,@object ; @__hip_cuid_fb3c93efb23b5c3f
	.section	.bss,"aw",@nobits
	.globl	__hip_cuid_fb3c93efb23b5c3f
__hip_cuid_fb3c93efb23b5c3f:
	.byte	0                               ; 0x0
	.size	__hip_cuid_fb3c93efb23b5c3f, 1

	.ident	"AMD clang version 19.0.0git (https://github.com/RadeonOpenCompute/llvm-project roc-6.4.0 25133 c7fe45cf4b819c5991fe208aaa96edf142730f1d)"
	.section	".note.GNU-stack","",@progbits
	.addrsig
	.addrsig_sym __hip_cuid_fb3c93efb23b5c3f
	.amdgpu_metadata
---
amdhsa.kernels:
  - .args:
      - .actual_access:  read_only
        .address_space:  global
        .offset:         0
        .size:           8
        .value_kind:     global_buffer
      - .offset:         8
        .size:           8
        .value_kind:     by_value
      - .actual_access:  read_only
        .address_space:  global
        .offset:         16
        .size:           8
        .value_kind:     global_buffer
      - .actual_access:  read_only
        .address_space:  global
        .offset:         24
        .size:           8
        .value_kind:     global_buffer
      - .offset:         32
        .size:           8
        .value_kind:     by_value
      - .actual_access:  read_only
        .address_space:  global
        .offset:         40
        .size:           8
        .value_kind:     global_buffer
      - .actual_access:  read_only
        .address_space:  global
        .offset:         48
        .size:           8
        .value_kind:     global_buffer
      - .offset:         56
        .size:           4
        .value_kind:     by_value
      - .actual_access:  read_only
        .address_space:  global
        .offset:         64
        .size:           8
        .value_kind:     global_buffer
      - .actual_access:  read_only
        .address_space:  global
        .offset:         72
        .size:           8
        .value_kind:     global_buffer
      - .address_space:  global
        .offset:         80
        .size:           8
        .value_kind:     global_buffer
    .group_segment_fixed_size: 0
    .kernarg_segment_align: 8
    .kernarg_segment_size: 88
    .language:       OpenCL C
    .language_version:
      - 2
      - 0
    .max_flat_workgroup_size: 56
    .name:           fft_rtc_back_len1960_factors_4_7_2_7_5_wgs_56_tpt_56_halfLds_dp_ip_CI_unitstride_sbrr_R2C_dirReg
    .private_segment_fixed_size: 232
    .sgpr_count:     34
    .sgpr_spill_count: 0
    .symbol:         fft_rtc_back_len1960_factors_4_7_2_7_5_wgs_56_tpt_56_halfLds_dp_ip_CI_unitstride_sbrr_R2C_dirReg.kd
    .uniform_work_group_size: 1
    .uses_dynamic_stack: false
    .vgpr_count:     256
    .vgpr_spill_count: 65
    .wavefront_size: 32
    .workgroup_processor_mode: 1
amdhsa.target:   amdgcn-amd-amdhsa--gfx1201
amdhsa.version:
  - 1
  - 2
...

	.end_amdgpu_metadata
